;; amdgpu-corpus repo=ROCm/rocFFT kind=compiled arch=gfx1030 opt=O3
	.text
	.amdgcn_target "amdgcn-amd-amdhsa--gfx1030"
	.amdhsa_code_object_version 6
	.protected	fft_rtc_back_len2160_factors_10_6_6_6_wgs_60_tpt_60_halfLds_sp_op_CI_CI_unitstride_sbrr_C2R_dirReg ; -- Begin function fft_rtc_back_len2160_factors_10_6_6_6_wgs_60_tpt_60_halfLds_sp_op_CI_CI_unitstride_sbrr_C2R_dirReg
	.globl	fft_rtc_back_len2160_factors_10_6_6_6_wgs_60_tpt_60_halfLds_sp_op_CI_CI_unitstride_sbrr_C2R_dirReg
	.p2align	8
	.type	fft_rtc_back_len2160_factors_10_6_6_6_wgs_60_tpt_60_halfLds_sp_op_CI_CI_unitstride_sbrr_C2R_dirReg,@function
fft_rtc_back_len2160_factors_10_6_6_6_wgs_60_tpt_60_halfLds_sp_op_CI_CI_unitstride_sbrr_C2R_dirReg: ; @fft_rtc_back_len2160_factors_10_6_6_6_wgs_60_tpt_60_halfLds_sp_op_CI_CI_unitstride_sbrr_C2R_dirReg
; %bb.0:
	s_clause 0x2
	s_load_dwordx4 s[12:15], s[4:5], 0x0
	s_load_dwordx4 s[8:11], s[4:5], 0x58
	;; [unrolled: 1-line block ×3, first 2 shown]
	v_mul_u32_u24_e32 v1, 0x445, v0
	v_mov_b32_e32 v3, 0
	v_add_nc_u32_sdwa v5, s6, v1 dst_sel:DWORD dst_unused:UNUSED_PAD src0_sel:DWORD src1_sel:WORD_1
	v_mov_b32_e32 v1, 0
	v_mov_b32_e32 v6, v3
	v_mov_b32_e32 v2, 0
	s_waitcnt lgkmcnt(0)
	v_cmp_lt_u64_e64 s0, s[14:15], 2
	s_and_b32 vcc_lo, exec_lo, s0
	s_cbranch_vccnz .LBB0_8
; %bb.1:
	s_load_dwordx2 s[0:1], s[4:5], 0x10
	v_mov_b32_e32 v1, 0
	v_mov_b32_e32 v2, 0
	s_add_u32 s2, s18, 8
	s_addc_u32 s3, s19, 0
	s_add_u32 s6, s16, 8
	s_addc_u32 s7, s17, 0
	v_mov_b32_e32 v51, v2
	v_mov_b32_e32 v50, v1
	s_mov_b64 s[22:23], 1
	s_waitcnt lgkmcnt(0)
	s_add_u32 s20, s0, 8
	s_addc_u32 s21, s1, 0
.LBB0_2:                                ; =>This Inner Loop Header: Depth=1
	s_load_dwordx2 s[24:25], s[20:21], 0x0
                                        ; implicit-def: $vgpr52_vgpr53
	s_mov_b32 s0, exec_lo
	s_waitcnt lgkmcnt(0)
	v_or_b32_e32 v4, s25, v6
	v_cmpx_ne_u64_e32 0, v[3:4]
	s_xor_b32 s1, exec_lo, s0
	s_cbranch_execz .LBB0_4
; %bb.3:                                ;   in Loop: Header=BB0_2 Depth=1
	v_cvt_f32_u32_e32 v4, s24
	v_cvt_f32_u32_e32 v7, s25
	s_sub_u32 s0, 0, s24
	s_subb_u32 s26, 0, s25
	v_fmac_f32_e32 v4, 0x4f800000, v7
	v_rcp_f32_e32 v4, v4
	v_mul_f32_e32 v4, 0x5f7ffffc, v4
	v_mul_f32_e32 v7, 0x2f800000, v4
	v_trunc_f32_e32 v7, v7
	v_fmac_f32_e32 v4, 0xcf800000, v7
	v_cvt_u32_f32_e32 v7, v7
	v_cvt_u32_f32_e32 v4, v4
	v_mul_lo_u32 v8, s0, v7
	v_mul_hi_u32 v9, s0, v4
	v_mul_lo_u32 v10, s26, v4
	v_add_nc_u32_e32 v8, v9, v8
	v_mul_lo_u32 v9, s0, v4
	v_add_nc_u32_e32 v8, v8, v10
	v_mul_hi_u32 v10, v4, v9
	v_mul_lo_u32 v11, v4, v8
	v_mul_hi_u32 v12, v4, v8
	v_mul_hi_u32 v13, v7, v9
	v_mul_lo_u32 v9, v7, v9
	v_mul_hi_u32 v14, v7, v8
	v_mul_lo_u32 v8, v7, v8
	v_add_co_u32 v10, vcc_lo, v10, v11
	v_add_co_ci_u32_e32 v11, vcc_lo, 0, v12, vcc_lo
	v_add_co_u32 v9, vcc_lo, v10, v9
	v_add_co_ci_u32_e32 v9, vcc_lo, v11, v13, vcc_lo
	v_add_co_ci_u32_e32 v10, vcc_lo, 0, v14, vcc_lo
	v_add_co_u32 v8, vcc_lo, v9, v8
	v_add_co_ci_u32_e32 v9, vcc_lo, 0, v10, vcc_lo
	v_add_co_u32 v4, vcc_lo, v4, v8
	v_add_co_ci_u32_e32 v7, vcc_lo, v7, v9, vcc_lo
	v_mul_hi_u32 v8, s0, v4
	v_mul_lo_u32 v10, s26, v4
	v_mul_lo_u32 v9, s0, v7
	v_add_nc_u32_e32 v8, v8, v9
	v_mul_lo_u32 v9, s0, v4
	v_add_nc_u32_e32 v8, v8, v10
	v_mul_hi_u32 v10, v4, v9
	v_mul_lo_u32 v11, v4, v8
	v_mul_hi_u32 v12, v4, v8
	v_mul_hi_u32 v13, v7, v9
	v_mul_lo_u32 v9, v7, v9
	v_mul_hi_u32 v14, v7, v8
	v_mul_lo_u32 v8, v7, v8
	v_add_co_u32 v10, vcc_lo, v10, v11
	v_add_co_ci_u32_e32 v11, vcc_lo, 0, v12, vcc_lo
	v_add_co_u32 v9, vcc_lo, v10, v9
	v_add_co_ci_u32_e32 v9, vcc_lo, v11, v13, vcc_lo
	v_add_co_ci_u32_e32 v10, vcc_lo, 0, v14, vcc_lo
	v_add_co_u32 v8, vcc_lo, v9, v8
	v_add_co_ci_u32_e32 v9, vcc_lo, 0, v10, vcc_lo
	v_add_co_u32 v4, vcc_lo, v4, v8
	v_add_co_ci_u32_e32 v11, vcc_lo, v7, v9, vcc_lo
	v_mul_hi_u32 v13, v5, v4
	v_mad_u64_u32 v[9:10], null, v6, v4, 0
	v_mad_u64_u32 v[7:8], null, v5, v11, 0
	;; [unrolled: 1-line block ×3, first 2 shown]
	v_add_co_u32 v4, vcc_lo, v13, v7
	v_add_co_ci_u32_e32 v7, vcc_lo, 0, v8, vcc_lo
	v_add_co_u32 v4, vcc_lo, v4, v9
	v_add_co_ci_u32_e32 v4, vcc_lo, v7, v10, vcc_lo
	v_add_co_ci_u32_e32 v7, vcc_lo, 0, v12, vcc_lo
	v_add_co_u32 v4, vcc_lo, v4, v11
	v_add_co_ci_u32_e32 v9, vcc_lo, 0, v7, vcc_lo
	v_mul_lo_u32 v10, s25, v4
	v_mad_u64_u32 v[7:8], null, s24, v4, 0
	v_mul_lo_u32 v11, s24, v9
	v_sub_co_u32 v7, vcc_lo, v5, v7
	v_add3_u32 v8, v8, v11, v10
	v_sub_nc_u32_e32 v10, v6, v8
	v_subrev_co_ci_u32_e64 v10, s0, s25, v10, vcc_lo
	v_add_co_u32 v11, s0, v4, 2
	v_add_co_ci_u32_e64 v12, s0, 0, v9, s0
	v_sub_co_u32 v13, s0, v7, s24
	v_sub_co_ci_u32_e32 v8, vcc_lo, v6, v8, vcc_lo
	v_subrev_co_ci_u32_e64 v10, s0, 0, v10, s0
	v_cmp_le_u32_e32 vcc_lo, s24, v13
	v_cmp_eq_u32_e64 s0, s25, v8
	v_cndmask_b32_e64 v13, 0, -1, vcc_lo
	v_cmp_le_u32_e32 vcc_lo, s25, v10
	v_cndmask_b32_e64 v14, 0, -1, vcc_lo
	v_cmp_le_u32_e32 vcc_lo, s24, v7
	;; [unrolled: 2-line block ×3, first 2 shown]
	v_cndmask_b32_e64 v15, 0, -1, vcc_lo
	v_cmp_eq_u32_e32 vcc_lo, s25, v10
	v_cndmask_b32_e64 v7, v15, v7, s0
	v_cndmask_b32_e32 v10, v14, v13, vcc_lo
	v_add_co_u32 v13, vcc_lo, v4, 1
	v_add_co_ci_u32_e32 v14, vcc_lo, 0, v9, vcc_lo
	v_cmp_ne_u32_e32 vcc_lo, 0, v10
	v_cndmask_b32_e32 v8, v14, v12, vcc_lo
	v_cndmask_b32_e32 v10, v13, v11, vcc_lo
	v_cmp_ne_u32_e32 vcc_lo, 0, v7
	v_cndmask_b32_e32 v53, v9, v8, vcc_lo
	v_cndmask_b32_e32 v52, v4, v10, vcc_lo
.LBB0_4:                                ;   in Loop: Header=BB0_2 Depth=1
	s_andn2_saveexec_b32 s0, s1
	s_cbranch_execz .LBB0_6
; %bb.5:                                ;   in Loop: Header=BB0_2 Depth=1
	v_cvt_f32_u32_e32 v4, s24
	s_sub_i32 s1, 0, s24
	v_mov_b32_e32 v53, v3
	v_rcp_iflag_f32_e32 v4, v4
	v_mul_f32_e32 v4, 0x4f7ffffe, v4
	v_cvt_u32_f32_e32 v4, v4
	v_mul_lo_u32 v7, s1, v4
	v_mul_hi_u32 v7, v4, v7
	v_add_nc_u32_e32 v4, v4, v7
	v_mul_hi_u32 v4, v5, v4
	v_mul_lo_u32 v7, v4, s24
	v_add_nc_u32_e32 v8, 1, v4
	v_sub_nc_u32_e32 v7, v5, v7
	v_subrev_nc_u32_e32 v9, s24, v7
	v_cmp_le_u32_e32 vcc_lo, s24, v7
	v_cndmask_b32_e32 v7, v7, v9, vcc_lo
	v_cndmask_b32_e32 v4, v4, v8, vcc_lo
	v_cmp_le_u32_e32 vcc_lo, s24, v7
	v_add_nc_u32_e32 v8, 1, v4
	v_cndmask_b32_e32 v52, v4, v8, vcc_lo
.LBB0_6:                                ;   in Loop: Header=BB0_2 Depth=1
	s_or_b32 exec_lo, exec_lo, s0
	v_mul_lo_u32 v4, v53, s24
	v_mul_lo_u32 v9, v52, s25
	s_load_dwordx2 s[0:1], s[6:7], 0x0
	v_mad_u64_u32 v[7:8], null, v52, s24, 0
	s_load_dwordx2 s[24:25], s[2:3], 0x0
	s_add_u32 s22, s22, 1
	s_addc_u32 s23, s23, 0
	s_add_u32 s2, s2, 8
	s_addc_u32 s3, s3, 0
	s_add_u32 s6, s6, 8
	v_add3_u32 v4, v8, v9, v4
	v_sub_co_u32 v5, vcc_lo, v5, v7
	s_addc_u32 s7, s7, 0
	s_add_u32 s20, s20, 8
	v_sub_co_ci_u32_e32 v4, vcc_lo, v6, v4, vcc_lo
	s_addc_u32 s21, s21, 0
	s_waitcnt lgkmcnt(0)
	v_mul_lo_u32 v6, s0, v4
	v_mul_lo_u32 v7, s1, v5
	v_mad_u64_u32 v[1:2], null, s0, v5, v[1:2]
	v_mul_lo_u32 v4, s24, v4
	v_mul_lo_u32 v8, s25, v5
	v_mad_u64_u32 v[50:51], null, s24, v5, v[50:51]
	v_cmp_ge_u64_e64 s0, s[22:23], s[14:15]
	v_add3_u32 v2, v7, v2, v6
	v_add3_u32 v51, v8, v51, v4
	s_and_b32 vcc_lo, exec_lo, s0
	s_cbranch_vccnz .LBB0_9
; %bb.7:                                ;   in Loop: Header=BB0_2 Depth=1
	v_mov_b32_e32 v5, v52
	v_mov_b32_e32 v6, v53
	s_branch .LBB0_2
.LBB0_8:
	v_mov_b32_e32 v51, v2
	v_mov_b32_e32 v53, v6
	;; [unrolled: 1-line block ×4, first 2 shown]
.LBB0_9:
	s_load_dwordx2 s[0:1], s[4:5], 0x28
	v_mul_hi_u32 v3, 0x4444445, v0
	s_lshl_b64 s[4:5], s[14:15], 3
                                        ; implicit-def: $vgpr48
	s_add_u32 s2, s18, s4
	s_addc_u32 s3, s19, s5
	s_waitcnt lgkmcnt(0)
	v_cmp_gt_u64_e32 vcc_lo, s[0:1], v[52:53]
	v_cmp_le_u64_e64 s0, s[0:1], v[52:53]
	s_and_saveexec_b32 s1, s0
	s_xor_b32 s0, exec_lo, s1
; %bb.10:
	v_mul_u32_u24_e32 v1, 60, v3
                                        ; implicit-def: $vgpr3
	v_sub_nc_u32_e32 v48, v0, v1
                                        ; implicit-def: $vgpr0
                                        ; implicit-def: $vgpr1_vgpr2
; %bb.11:
	s_or_saveexec_b32 s1, s0
	s_load_dwordx2 s[2:3], s[2:3], 0x0
	s_xor_b32 exec_lo, exec_lo, s1
	s_cbranch_execz .LBB0_15
; %bb.12:
	s_add_u32 s4, s16, s4
	s_addc_u32 s5, s17, s5
	v_mul_u32_u24_e32 v3, 60, v3
	s_load_dwordx2 s[4:5], s[4:5], 0x0
	v_sub_nc_u32_e32 v48, v0, v3
	v_lshlrev_b64 v[0:1], 3, v[1:2]
	v_lshlrev_b32_e32 v49, 3, v48
	s_waitcnt lgkmcnt(0)
	v_mul_lo_u32 v6, s5, v52
	v_mul_lo_u32 v7, s4, v53
	v_mad_u64_u32 v[4:5], null, s4, v52, 0
	v_add3_u32 v5, v5, v7, v6
	v_or_b32_e32 v6, 0x3c00, v49
	v_lshlrev_b64 v[3:4], 3, v[4:5]
	v_add_co_u32 v2, s0, s8, v3
	v_add_co_ci_u32_e64 v3, s0, s9, v4, s0
	v_or_b32_e32 v4, 0x1e00, v49
	v_add_co_u32 v0, s0, v2, v0
	v_add_co_ci_u32_e64 v1, s0, v3, v1, s0
	v_add_co_u32 v2, s0, v0, v49
	v_add_co_ci_u32_e64 v3, s0, 0, v1, s0
	;; [unrolled: 2-line block ×11, first 2 shown]
	s_clause 0xb
	global_load_dwordx2 v[14:15], v[2:3], off
	global_load_dwordx2 v[16:17], v[2:3], off offset:480
	global_load_dwordx2 v[18:19], v[2:3], off offset:960
	;; [unrolled: 1-line block ×11, first 2 shown]
	v_add_co_u32 v2, s0, 0x4000, v2
	v_add_co_ci_u32_e64 v3, s0, 0, v3, s0
	s_clause 0x17
	global_load_dwordx2 v[10:11], v[10:11], off offset:1664
	global_load_dwordx2 v[44:45], v[12:13], off offset:96
	;; [unrolled: 1-line block ×6, first 2 shown]
	global_load_dwordx2 v[4:5], v[4:5], off
	global_load_dwordx2 v[12:13], v[12:13], off offset:2016
	global_load_dwordx2 v[60:61], v[22:23], off offset:1408
	;; [unrolled: 1-line block ×15, first 2 shown]
	global_load_dwordx2 v[6:7], v[6:7], off
	global_load_dwordx2 v[42:43], v[42:43], off offset:1984
	v_add_nc_u32_e32 v49, 0, v49
	v_cmp_eq_u32_e64 s0, 59, v48
	v_add_nc_u32_e32 v80, 0x400, v49
	v_add_nc_u32_e32 v81, 0x800, v49
	v_add_nc_u32_e32 v82, 0xc00, v49
	v_add_nc_u32_e32 v83, 0x1000, v49
	v_add_nc_u32_e32 v84, 0x1400, v49
	v_add_nc_u32_e32 v85, 0x1800, v49
	v_add_nc_u32_e32 v86, 0x2000, v49
	v_add_nc_u32_e32 v87, 0x2800, v49
	v_add_nc_u32_e32 v88, 0x3000, v49
	v_add_nc_u32_e32 v89, 0x3800, v49
	v_add_nc_u32_e32 v90, 0x3c00, v49
	s_waitcnt vmcnt(34)
	ds_write2_b64 v49, v[14:15], v[16:17] offset1:60
	s_waitcnt vmcnt(32)
	ds_write2_b64 v49, v[18:19], v[20:21] offset0:120 offset1:180
	s_waitcnt vmcnt(30)
	ds_write2_b64 v80, v[24:25], v[26:27] offset0:112 offset1:172
	;; [unrolled: 2-line block ×8, first 2 shown]
	ds_write2_b64 v86, v[58:59], v[56:57] offset0:56 offset1:116
	s_waitcnt vmcnt(14)
	ds_write2_b64 v86, v[60:61], v[22:23] offset0:176 offset1:236
	s_waitcnt vmcnt(12)
	;; [unrolled: 2-line block ×8, first 2 shown]
	ds_write2_b64 v90, v[42:43], v[2:3] offset0:120 offset1:180
	s_and_saveexec_b32 s4, s0
	s_cbranch_execz .LBB0_14
; %bb.13:
	v_add_co_u32 v0, s0, 0x4000, v0
	v_add_co_ci_u32_e64 v1, s0, 0, v1, s0
	v_mov_b32_e32 v2, 0
	v_mov_b32_e32 v48, 59
	global_load_dwordx2 v[0:1], v[0:1], off offset:896
	s_waitcnt vmcnt(0)
	ds_write_b64 v2, v[0:1] offset:17280
.LBB0_14:
	s_or_b32 exec_lo, exec_lo, s4
.LBB0_15:
	s_or_b32 exec_lo, exec_lo, s1
	v_lshlrev_b32_e32 v0, 3, v48
	s_waitcnt lgkmcnt(0)
	s_barrier
	buffer_gl0_inv
	s_add_u32 s1, s12, 0x4330
	v_add_nc_u32_e32 v56, 0, v0
	v_sub_nc_u32_e32 v4, 0, v0
	s_addc_u32 s4, s13, 0
	s_mov_b32 s5, exec_lo
                                        ; implicit-def: $vgpr2_vgpr3
	ds_read_b32 v5, v56
	ds_read_b32 v6, v4 offset:17280
	s_waitcnt lgkmcnt(0)
	v_add_f32_e32 v0, v6, v5
	v_sub_f32_e32 v1, v5, v6
	v_cmpx_ne_u32_e32 0, v48
	s_xor_b32 s5, exec_lo, s5
	s_cbranch_execz .LBB0_17
; %bb.16:
	v_mov_b32_e32 v49, 0
	v_add_f32_e32 v7, v6, v5
	v_sub_f32_e32 v8, v5, v6
	v_lshlrev_b64 v[0:1], 3, v[48:49]
	v_add_co_u32 v0, s0, s1, v0
	v_add_co_ci_u32_e64 v1, s0, s4, v1, s0
	global_load_dwordx2 v[2:3], v[0:1], off
	ds_read_b32 v0, v4 offset:17284
	ds_read_b32 v1, v56 offset:4
	s_waitcnt lgkmcnt(0)
	v_add_f32_e32 v9, v0, v1
	v_sub_f32_e32 v0, v1, v0
	s_waitcnt vmcnt(0)
	v_fma_f32 v5, -v8, v3, v7
	v_fma_f32 v6, v9, v3, -v0
	v_fma_f32 v10, v8, v3, v7
	v_fma_f32 v1, v9, v3, v0
	v_fmac_f32_e32 v5, v2, v9
	v_fmac_f32_e32 v6, v8, v2
	v_fma_f32 v0, -v2, v9, v10
	v_fmac_f32_e32 v1, v8, v2
	v_mov_b32_e32 v2, v48
	v_mov_b32_e32 v3, v49
	ds_write_b64 v4, v[5:6] offset:17280
.LBB0_17:
	s_andn2_saveexec_b32 s0, s5
	s_cbranch_execz .LBB0_19
; %bb.18:
	v_mov_b32_e32 v7, 0
	ds_read_b64 v[2:3], v7 offset:8640
	s_waitcnt lgkmcnt(0)
	v_add_f32_e32 v5, v2, v2
	v_mul_f32_e32 v6, -2.0, v3
	v_mov_b32_e32 v2, 0
	v_mov_b32_e32 v3, 0
	ds_write_b64 v7, v[5:6] offset:8640
.LBB0_19:
	s_or_b32 exec_lo, exec_lo, s0
	v_lshlrev_b64 v[2:3], 3, v[2:3]
	v_add_nc_u32_e32 v61, 0x800, v56
	v_add_nc_u32_e32 v57, 0x1800, v56
	;; [unrolled: 1-line block ×5, first 2 shown]
	v_add_co_u32 v2, s0, s1, v2
	v_add_co_ci_u32_e64 v3, s0, s4, v3, s0
	v_add_nc_u32_e32 v60, 0x2000, v56
	v_add_co_u32 v13, s0, 0x800, v2
	s_clause 0x3
	global_load_dwordx2 v[5:6], v[2:3], off offset:480
	global_load_dwordx2 v[7:8], v[2:3], off offset:960
	;; [unrolled: 1-line block ×4, first 2 shown]
	v_add_co_ci_u32_e64 v14, s0, 0, v3, s0
	v_add_nc_u32_e32 v63, 0x3800, v56
	v_add_nc_u32_e32 v62, 0x400, v56
	s_clause 0x2
	global_load_dwordx2 v[15:16], v[13:14], off offset:352
	global_load_dwordx2 v[17:18], v[13:14], off offset:832
	;; [unrolled: 1-line block ×3, first 2 shown]
	ds_write_b64 v56, v[0:1]
	ds_read_b64 v[0:1], v56 offset:480
	ds_read_b64 v[21:22], v4 offset:16800
	global_load_dwordx2 v[13:14], v[13:14], off offset:1792
	s_waitcnt lgkmcnt(0)
	v_add_f32_e32 v23, v0, v21
	v_add_f32_e32 v24, v22, v1
	v_sub_f32_e32 v25, v0, v21
	v_sub_f32_e32 v0, v1, v22
	s_waitcnt vmcnt(7)
	v_fma_f32 v26, v25, v6, v23
	v_fma_f32 v1, v24, v6, v0
	v_fma_f32 v21, -v25, v6, v23
	v_fma_f32 v22, v24, v6, -v0
	v_fma_f32 v0, -v5, v24, v26
	v_fmac_f32_e32 v1, v25, v5
	v_fmac_f32_e32 v21, v5, v24
	v_fmac_f32_e32 v22, v25, v5
	v_add_co_u32 v5, s0, 0x1000, v2
	v_add_co_ci_u32_e64 v6, s0, 0, v3, s0
	ds_write_b64 v56, v[0:1] offset:480
	ds_write_b64 v4, v[21:22] offset:16800
	ds_read_b64 v[0:1], v56 offset:960
	ds_read_b64 v[21:22], v4 offset:16320
	v_add_co_u32 v2, s0, 0x1800, v2
	global_load_dwordx2 v[23:24], v[5:6], off offset:224
	v_add_co_ci_u32_e64 v3, s0, 0, v3, s0
	s_waitcnt lgkmcnt(0)
	v_add_f32_e32 v25, v0, v21
	v_add_f32_e32 v26, v22, v1
	v_sub_f32_e32 v27, v0, v21
	v_sub_f32_e32 v0, v1, v22
	s_waitcnt vmcnt(7)
	v_fma_f32 v28, v27, v8, v25
	v_fma_f32 v1, v26, v8, v0
	v_fma_f32 v21, -v27, v8, v25
	v_fma_f32 v22, v26, v8, -v0
	v_fma_f32 v0, -v7, v26, v28
	v_fmac_f32_e32 v1, v27, v7
	v_fmac_f32_e32 v21, v7, v26
	v_fmac_f32_e32 v22, v27, v7
	ds_write_b64 v56, v[0:1] offset:960
	ds_write_b64 v4, v[21:22] offset:16320
	ds_read_b64 v[0:1], v56 offset:1440
	ds_read_b64 v[7:8], v4 offset:15840
	global_load_dwordx2 v[21:22], v[5:6], off offset:704
	s_waitcnt lgkmcnt(0)
	v_add_f32_e32 v25, v0, v7
	v_add_f32_e32 v26, v8, v1
	v_sub_f32_e32 v27, v0, v7
	v_sub_f32_e32 v0, v1, v8
	s_waitcnt vmcnt(7)
	v_fma_f32 v28, v27, v10, v25
	v_fma_f32 v1, v26, v10, v0
	v_fma_f32 v7, -v27, v10, v25
	v_fma_f32 v8, v26, v10, -v0
	v_fma_f32 v0, -v9, v26, v28
	v_fmac_f32_e32 v1, v27, v9
	v_fmac_f32_e32 v7, v9, v26
	v_fmac_f32_e32 v8, v27, v9
	ds_write_b64 v56, v[0:1] offset:1440
	ds_write_b64 v4, v[7:8] offset:15840
	ds_read_b64 v[0:1], v56 offset:1920
	ds_read_b64 v[7:8], v4 offset:15360
	global_load_dwordx2 v[9:10], v[5:6], off offset:1184
	;; [unrolled: 19-line block ×6, first 2 shown]
	s_waitcnt lgkmcnt(0)
	v_add_f32_e32 v19, v0, v7
	v_add_f32_e32 v25, v8, v1
	v_sub_f32_e32 v26, v0, v7
	v_sub_f32_e32 v7, v1, v8
	v_or_b32_e32 v0, 0x3c0, v48
	v_mov_b32_e32 v1, 0
	s_waitcnt vmcnt(7)
	v_fma_f32 v27, v26, v14, v19
	v_fma_f32 v8, v25, v14, v7
	v_fma_f32 v19, -v26, v14, v19
	v_lshlrev_b64 v[0:1], 3, v[0:1]
	v_fma_f32 v20, v25, v14, -v7
	v_fma_f32 v7, -v13, v25, v27
	v_fmac_f32_e32 v8, v26, v13
	v_fmac_f32_e32 v19, v13, v25
	v_add_co_u32 v0, s0, s1, v0
	v_fmac_f32_e32 v20, v26, v13
	v_add_co_ci_u32_e64 v1, s0, s4, v1, s0
	ds_write_b64 v56, v[7:8] offset:3840
	ds_write_b64 v4, v[19:20] offset:13440
	ds_read_b64 v[7:8], v56 offset:4320
	ds_read_b64 v[13:14], v4 offset:12960
	global_load_dwordx2 v[0:1], v[0:1], off
	v_cmp_gt_u32_e64 s0, 36, v48
	s_waitcnt lgkmcnt(0)
	v_add_f32_e32 v19, v7, v13
	v_add_f32_e32 v20, v14, v8
	v_sub_f32_e32 v25, v7, v13
	v_sub_f32_e32 v7, v8, v14
	s_waitcnt vmcnt(7)
	v_fma_f32 v26, v25, v24, v19
	v_fma_f32 v8, v20, v24, v7
	v_fma_f32 v13, -v25, v24, v19
	v_fma_f32 v14, v20, v24, -v7
	v_fma_f32 v7, -v23, v20, v26
	v_fmac_f32_e32 v8, v25, v23
	v_fmac_f32_e32 v13, v23, v20
	;; [unrolled: 1-line block ×3, first 2 shown]
	ds_write_b64 v56, v[7:8] offset:4320
	ds_write_b64 v4, v[13:14] offset:12960
	ds_read_b64 v[7:8], v56 offset:4800
	ds_read_b64 v[13:14], v4 offset:12480
	global_load_dwordx2 v[2:3], v[2:3], off offset:2016
	s_waitcnt lgkmcnt(0)
	v_add_f32_e32 v19, v7, v13
	v_add_f32_e32 v20, v14, v8
	v_sub_f32_e32 v23, v7, v13
	v_sub_f32_e32 v7, v8, v14
	s_waitcnt vmcnt(7)
	v_fma_f32 v24, v23, v22, v19
	v_fma_f32 v8, v20, v22, v7
	v_fma_f32 v13, -v23, v22, v19
	v_fma_f32 v14, v20, v22, -v7
	v_fma_f32 v7, -v21, v20, v24
	v_fmac_f32_e32 v8, v23, v21
	v_fmac_f32_e32 v13, v21, v20
	v_fmac_f32_e32 v14, v23, v21
	ds_write_b64 v56, v[7:8] offset:4800
	ds_write_b64 v4, v[13:14] offset:12480
	ds_read_b64 v[7:8], v56 offset:5280
	ds_read_b64 v[13:14], v4 offset:12000
	s_waitcnt lgkmcnt(0)
	v_add_f32_e32 v19, v7, v13
	v_add_f32_e32 v20, v14, v8
	v_sub_f32_e32 v21, v7, v13
	v_sub_f32_e32 v7, v8, v14
	s_waitcnt vmcnt(6)
	v_fma_f32 v22, v21, v10, v19
	v_fma_f32 v8, v20, v10, v7
	v_fma_f32 v13, -v21, v10, v19
	v_fma_f32 v14, v20, v10, -v7
	v_fma_f32 v7, -v9, v20, v22
	v_fmac_f32_e32 v8, v21, v9
	v_fmac_f32_e32 v13, v9, v20
	v_fmac_f32_e32 v14, v21, v9
	ds_write_b64 v56, v[7:8] offset:5280
	ds_write_b64 v4, v[13:14] offset:12000
	ds_read_b64 v[7:8], v56 offset:5760
	ds_read_b64 v[9:10], v4 offset:11520
	;; [unrolled: 18-line block ×7, first 2 shown]
	s_waitcnt lgkmcnt(0)
	v_add_f32_e32 v7, v0, v5
	v_add_f32_e32 v9, v6, v1
	v_sub_f32_e32 v0, v0, v5
	v_sub_f32_e32 v1, v1, v6
	s_waitcnt vmcnt(0)
	v_fma_f32 v5, v0, v3, v7
	v_fma_f32 v6, v9, v3, v1
	v_fma_f32 v7, -v0, v3, v7
	v_fma_f32 v8, v9, v3, -v1
	v_fma_f32 v5, -v2, v9, v5
	v_fmac_f32_e32 v6, v0, v2
	v_fmac_f32_e32 v7, v2, v9
	;; [unrolled: 1-line block ×3, first 2 shown]
	ds_write_b64 v56, v[5:6] offset:8160
	ds_write_b64 v4, v[7:8] offset:9120
	s_waitcnt lgkmcnt(0)
	s_barrier
	buffer_gl0_inv
	s_barrier
	buffer_gl0_inv
	ds_read2_b64 v[40:43], v61 offset0:176 offset1:236
	ds_read2_b64 v[36:39], v57 offset0:96 offset1:156
	ds_read2_b64 v[32:35], v58 offset0:16 offset1:76
	ds_read2_b64 v[28:31], v59 offset0:192 offset1:252
	ds_read2_b64 v[24:27], v56 offset1:60
	v_add_nc_u32_e32 v0, 0x2c00, v56
	ds_read2_b64 v[80:83], v49 offset0:136 offset1:196
	ds_read2_b64 v[88:91], v60 offset0:56 offset1:116
	;; [unrolled: 1-line block ×4, first 2 shown]
	v_add_nc_u32_e32 v0, 0x1c00, v56
	ds_read2_b64 v[44:47], v62 offset0:88 offset1:148
	ds_read2_b64 v[0:3], v0 offset0:88 offset1:148
	;; [unrolled: 1-line block ×5, first 2 shown]
	ds_read2_b64 v[8:11], v57 offset1:60
	ds_read2_b64 v[20:23], v60 offset0:176 offset1:236
	s_waitcnt lgkmcnt(14)
	v_sub_f32_e32 v71, v38, v42
	v_sub_f32_e32 v76, v42, v38
	s_waitcnt lgkmcnt(12)
	v_add_f32_e32 v108, v42, v30
	v_sub_f32_e32 v69, v42, v30
	s_waitcnt lgkmcnt(11)
	v_add_f32_e32 v42, v26, v42
	v_add_f32_e32 v54, v27, v43
	;; [unrolled: 1-line block ×3, first 2 shown]
	v_sub_f32_e32 v86, v39, v43
	v_sub_f32_e32 v67, v43, v31
	;; [unrolled: 1-line block ×4, first 2 shown]
	v_add_f32_e32 v43, v38, v34
	v_add_f32_e32 v111, v40, v28
	v_add_f32_e32 v114, v24, v40
	v_sub_f32_e32 v117, v40, v36
	v_sub_f32_e32 v118, v36, v40
	;; [unrolled: 1-line block ×3, first 2 shown]
	v_add_f32_e32 v38, v42, v38
	s_waitcnt lgkmcnt(6)
	v_add_f32_e32 v40, v44, v80
	v_sub_f32_e32 v72, v34, v30
	v_add_f32_e32 v55, v39, v35
	v_add_f32_e32 v103, v91, v95
	;; [unrolled: 1-line block ×3, first 2 shown]
	v_sub_f32_e32 v77, v30, v34
	v_add_f32_e32 v115, v25, v41
	v_add_f32_e32 v38, v38, v34
	;; [unrolled: 1-line block ×5, first 2 shown]
	v_sub_f32_e32 v68, v90, v94
	v_add_f32_e32 v112, v37, v33
	v_sub_f32_e32 v120, v41, v37
	v_sub_f32_e32 v121, v37, v41
	v_sub_f32_e32 v87, v37, v33
	v_add_f32_e32 v37, v115, v37
	v_fma_f32 v134, -0.5, v55, v27
	v_add_f32_e32 v55, v34, v92
	v_fma_f32 v103, -0.5, v103, v47
	v_fmac_f32_e32 v47, -0.5, v104
	v_sub_f32_e32 v101, v90, v82
	v_sub_f32_e32 v106, v91, v83
	;; [unrolled: 1-line block ×8, first 2 shown]
	v_add_f32_e32 v82, v46, v82
	v_add_f32_e32 v110, v36, v32
	;; [unrolled: 1-line block ×3, first 2 shown]
	v_sub_f32_e32 v116, v41, v29
	v_sub_f32_e32 v85, v36, v32
	;; [unrolled: 1-line block ×4, first 2 shown]
	v_add_f32_e32 v41, v80, v96
	v_add_f32_e32 v39, v54, v39
	;; [unrolled: 1-line block ×5, first 2 shown]
	v_sub_f32_e32 v127, v80, v96
	v_add_f32_e32 v33, v105, v91
	v_sub_f32_e32 v133, v96, v92
	v_sub_f32_e32 v135, v92, v96
	v_fma_f32 v104, -0.5, v109, v46
	v_add_f32_e32 v91, v55, v96
	v_fmamk_f32 v96, v68, 0xbf737871, v47
	v_fmac_f32_e32 v47, 0x3f737871, v68
	v_sub_f32_e32 v100, v35, v31
	v_sub_f32_e32 v102, v94, v98
	;; [unrolled: 1-line block ×6, first 2 shown]
	v_add_f32_e32 v39, v39, v35
	v_add_f32_e32 v36, v36, v32
	;; [unrolled: 1-line block ×4, first 2 shown]
	v_sub_f32_e32 v132, v99, v95
	v_fmac_f32_e32 v27, -0.5, v84
	v_add_f32_e32 v42, v33, v95
	v_add_f32_e32 v95, v106, v107
	v_fmamk_f32 v106, v65, 0x3f737871, v104
	v_fmac_f32_e32 v104, 0xbf737871, v65
	v_fmac_f32_e32 v47, 0xbf167918, v73
	v_add_f32_e32 v83, v90, v94
	v_add_f32_e32 v54, v81, v97
	v_sub_f32_e32 v114, v81, v97
	v_sub_f32_e32 v128, v81, v89
	;; [unrolled: 1-line block ×3, first 2 shown]
	v_add_f32_e32 v81, v89, v93
	v_sub_f32_e32 v130, v89, v93
	v_sub_f32_e32 v131, v98, v94
	v_sub_f32_e32 v136, v97, v93
	v_add_f32_e32 v101, v101, v102
	v_sub_f32_e32 v102, v93, v97
	v_add_f32_e32 v40, v32, v94
	v_add_f32_e32 v82, v35, v93
	ds_read2_b64 v[32:35], v58 offset0:136 offset1:196
	v_add_f32_e32 v93, v38, v30
	v_add_f32_e32 v94, v39, v31
	v_add_f32_e32 v89, v36, v28
	v_add_f32_e32 v90, v37, v29
	ds_read2_b64 v[28:31], v59 offset0:96 offset1:156
	v_fmamk_f32 v107, v64, 0xbf737871, v27
	v_fmac_f32_e32 v27, 0x3f737871, v64
	v_fmac_f32_e32 v104, 0x3f167918, v70
	;; [unrolled: 1-line block ×3, first 2 shown]
	v_sub_f32_e32 v115, v80, v88
	v_sub_f32_e32 v126, v88, v80
	v_add_f32_e32 v80, v88, v92
	v_add_f32_e32 v100, v86, v100
	v_fmac_f32_e32 v27, 0xbf167918, v69
	v_fmac_f32_e32 v104, 0x3e9e377a, v101
	v_mul_f32_e32 v38, 0xbe9e377a, v47
	v_sub_f32_e32 v105, v88, v92
	s_waitcnt lgkmcnt(4)
	v_add_f32_e32 v36, v12, v16
	v_add_f32_e32 v37, v13, v17
	;; [unrolled: 1-line block ×4, first 2 shown]
	v_fma_f32 v40, -0.5, v80, v44
	s_waitcnt lgkmcnt(3)
	v_add_f32_e32 v39, v4, v8
	v_fmac_f32_e32 v27, 0x3e9e377a, v100
	v_fmac_f32_e32 v38, 0x3f737871, v104
	v_fma_f32 v80, -0.5, v110, v24
	v_fma_f32 v82, -0.5, v111, v24
	v_add_f32_e32 v24, v5, v9
	v_add_f32_e32 v99, v42, v99
	v_fma_f32 v97, -0.5, v83, v46
	v_fma_f32 v42, -0.5, v41, v44
	;; [unrolled: 1-line block ×7, first 2 shown]
	v_add_f32_e32 v43, v27, v38
	v_sub_f32_e32 v41, v27, v38
	v_add_f32_e32 v25, v36, v0
	v_add_f32_e32 v26, v37, v1
	s_waitcnt lgkmcnt(2)
	v_add_f32_e32 v27, v39, v20
	v_add_f32_e32 v24, v24, v21
	v_fma_f32 v109, -0.5, v54, v45
	s_waitcnt lgkmcnt(1)
	v_add_f32_e32 v36, v25, v32
	v_add_f32_e32 v37, v26, v33
	s_waitcnt lgkmcnt(0)
	v_add_f32_e32 v44, v27, v28
	v_add_f32_e32 v45, v24, v29
	ds_read2_b64 v[24:27], v63 offset0:56 offset1:116
	v_mul_f32_e32 v84, 0xbf737871, v47
	v_fmac_f32_e32 v96, 0x3f167918, v73
	v_fmac_f32_e32 v106, 0xbf167918, v70
	v_add_f32_e32 v76, v76, v77
	v_fmamk_f32 v77, v73, 0x3f737871, v103
	v_fmac_f32_e32 v103, 0xbf737871, v73
	v_fmac_f32_e32 v96, 0x3e9e377a, v95
	;; [unrolled: 1-line block ×3, first 2 shown]
	v_add_f32_e32 v79, v79, v132
	v_add_f32_e32 v78, v78, v131
	v_fmac_f32_e32 v103, 0xbf167918, v68
	v_mul_f32_e32 v95, 0xbf737871, v96
	v_add_f32_e32 v75, v74, v75
	v_fmac_f32_e32 v107, 0x3f167918, v69
	v_mul_f32_e32 v96, 0x3e9e377a, v96
	v_fmac_f32_e32 v103, 0x3e9e377a, v79
	v_fmac_f32_e32 v95, 0x3e9e377a, v106
	v_sub_f32_e32 v101, v16, v0
	v_fmac_f32_e32 v107, 0x3e9e377a, v100
	s_waitcnt lgkmcnt(0)
	v_add_f32_e32 v46, v36, v24
	v_add_nc_u32_e32 v36, 0x4000, v56
	v_add_f32_e32 v47, v37, v25
	v_mul_f32_e32 v73, 0xbf167918, v103
	v_mul_f32_e32 v74, 0xbf4f1bbd, v103
	v_sub_f32_e32 v103, v24, v32
	ds_read2_b64 v[36:39], v36 offset0:16 offset1:76
	v_fmac_f32_e32 v96, 0x3f737871, v106
	v_sub_f32_e32 v106, v25, v33
	v_fmamk_f32 v100, v69, 0x3f737871, v134
	v_add_f32_e32 v101, v101, v103
	v_sub_f32_e32 v103, v17, v1
	v_fmac_f32_e32 v134, 0xbf737871, v69
	v_sub_f32_e32 v110, v32, v24
	v_sub_f32_e32 v111, v33, v25
	v_fmac_f32_e32 v100, 0x3f167918, v64
	v_add_f32_e32 v103, v103, v106
	v_sub_f32_e32 v106, v8, v20
	v_fmac_f32_e32 v134, 0xbf167918, v64
	v_sub_f32_e32 v64, v17, v25
	v_fmac_f32_e32 v77, 0x3f167918, v68
	v_add_f32_e32 v68, v0, v32
	v_add_f32_e32 v118, v118, v123
	;; [unrolled: 1-line block ×4, first 2 shown]
	v_fmac_f32_e32 v77, 0x3e9e377a, v79
	s_waitcnt lgkmcnt(0)
	v_add_f32_e32 v55, v45, v37
	v_add_f32_e32 v54, v44, v36
	v_sub_f32_e32 v112, v28, v36
	v_sub_f32_e32 v113, v29, v37
	v_fma_f32 v68, -0.5, v68, v12
	v_add_f32_e32 v45, v47, v55
	v_sub_f32_e32 v47, v47, v55
	v_add_f32_e32 v55, v90, v92
	v_sub_f32_e32 v90, v90, v92
	v_sub_f32_e32 v92, v94, v99
	v_add_f32_e32 v94, v94, v99
	v_fmamk_f32 v99, v66, 0x3f737871, v86
	v_add_f32_e32 v44, v46, v54
	v_sub_f32_e32 v46, v46, v54
	v_add_f32_e32 v54, v89, v91
	v_sub_f32_e32 v89, v89, v91
	v_sub_f32_e32 v91, v93, v98
	v_add_f32_e32 v93, v93, v98
	v_add_f32_e32 v98, v71, v72
	v_fmac_f32_e32 v99, 0xbf167918, v67
	v_add_f32_e32 v72, v107, v96
	v_sub_f32_e32 v96, v107, v96
	v_sub_f32_e32 v107, v36, v28
	v_fmac_f32_e32 v86, 0xbf737871, v66
	v_fmac_f32_e32 v99, 0x3e9e377a, v98
	v_mul_f32_e32 v79, 0xbf167918, v77
	v_fmac_f32_e32 v134, 0x3e9e377a, v75
	v_add_f32_e32 v106, v106, v107
	v_sub_f32_e32 v107, v9, v21
	v_add_f32_e32 v71, v99, v95
	v_sub_f32_e32 v95, v99, v95
	v_fmamk_f32 v99, v70, 0xbf737871, v97
	v_fmac_f32_e32 v97, 0x3f737871, v70
	v_fmac_f32_e32 v86, 0x3f167918, v67
	v_add_f32_e32 v121, v121, v125
	v_fmac_f32_e32 v100, 0x3e9e377a, v75
	v_fmac_f32_e32 v99, 0xbf167918, v65
	;; [unrolled: 1-line block ×7, first 2 shown]
	s_barrier
	buffer_gl0_inv
	v_fmac_f32_e32 v79, 0x3f4f1bbd, v99
	v_fmac_f32_e32 v73, 0xbf4f1bbd, v97
	;; [unrolled: 1-line block ×3, first 2 shown]
	v_fmamk_f32 v97, v67, 0xbf737871, v108
	v_fmac_f32_e32 v108, 0x3f737871, v67
	v_add_f32_e32 v67, v16, v24
	v_add_f32_e32 v70, v134, v74
	v_fmac_f32_e32 v97, 0xbf167918, v66
	v_fmac_f32_e32 v108, 0x3f167918, v66
	v_sub_f32_e32 v66, v1, v33
	v_fma_f32 v123, -0.5, v67, v12
	v_fmamk_f32 v12, v64, 0xbf737871, v68
	v_fmac_f32_e32 v68, 0x3f737871, v64
	v_fmac_f32_e32 v108, 0x3e9e377a, v76
	;; [unrolled: 1-line block ×3, first 2 shown]
	v_fmamk_f32 v65, v66, 0x3f737871, v123
	v_fmac_f32_e32 v123, 0xbf737871, v66
	v_fmac_f32_e32 v12, 0xbf167918, v66
	v_add_f32_e32 v69, v108, v73
	v_sub_f32_e32 v73, v108, v73
	v_sub_f32_e32 v108, v37, v29
	v_fmac_f32_e32 v65, 0xbf167918, v64
	v_fmac_f32_e32 v123, 0x3f167918, v64
	v_mul_u32_u24_e32 v64, 10, v48
	v_fmac_f32_e32 v68, 0x3f167918, v66
	v_add_f32_e32 v107, v107, v108
	v_sub_f32_e32 v108, v0, v16
	v_sub_f32_e32 v0, v0, v32
	;; [unrolled: 1-line block ×3, first 2 shown]
	v_lshl_add_u32 v98, v64, 3, 0
	v_fmac_f32_e32 v12, 0x3e9e377a, v101
	v_add_f32_e32 v108, v108, v110
	v_sub_f32_e32 v110, v1, v17
	v_add_f32_e32 v17, v17, v25
	v_add_f32_e32 v1, v1, v33
	v_fmac_f32_e32 v68, 0x3e9e377a, v101
	v_fmac_f32_e32 v65, 0x3e9e377a, v108
	v_add_f32_e32 v110, v110, v111
	v_sub_f32_e32 v111, v20, v8
	v_fma_f32 v1, -0.5, v1, v13
	v_fmac_f32_e32 v123, 0x3e9e377a, v108
	v_add_nc_u32_e32 v101, 0x12d0, v98
	v_sub_f32_e32 v74, v134, v74
	v_add_f32_e32 v111, v111, v112
	v_sub_f32_e32 v112, v21, v9
	v_add_f32_e32 v9, v9, v37
	v_fmamk_f32 v37, v127, 0x3f737871, v88
	v_fmac_f32_e32 v88, 0xbf737871, v127
	v_add_nc_u32_e32 v108, 0x25a0, v98
	v_add_f32_e32 v112, v112, v113
	v_add_f32_e32 v113, v117, v122
	;; [unrolled: 1-line block ×3, first 2 shown]
	v_fma_f32 v124, -0.5, v17, v13
	v_sub_f32_e32 v13, v16, v24
	v_add_f32_e32 v24, v8, v36
	v_sub_f32_e32 v8, v8, v36
	v_add_f32_e32 v120, v128, v136
	v_fmamk_f32 v17, v0, 0xbf737871, v124
	v_fmac_f32_e32 v124, 0x3f737871, v0
	v_fmamk_f32 v16, v13, 0x3f737871, v1
	v_fmac_f32_e32 v1, 0xbf737871, v13
	v_fmac_f32_e32 v37, 0x3f167918, v105
	v_fmac_f32_e32 v17, 0x3f167918, v13
	v_fmac_f32_e32 v124, 0xbf167918, v13
	v_add_f32_e32 v13, v20, v28
	v_fmac_f32_e32 v16, 0x3f167918, v0
	v_fmac_f32_e32 v1, 0xbf167918, v0
	v_fmamk_f32 v0, v130, 0x3f737871, v42
	v_fmac_f32_e32 v42, 0xbf737871, v130
	v_fma_f32 v13, -0.5, v13, v4
	v_fma_f32 v4, -0.5, v24, v4
	v_sub_f32_e32 v24, v21, v29
	v_add_f32_e32 v21, v21, v29
	v_fmamk_f32 v29, v119, 0x3f737871, v81
	v_fmamk_f32 v33, v32, 0xbf737871, v13
	v_fmac_f32_e32 v13, 0x3f737871, v32
	v_fmamk_f32 v25, v24, 0x3f737871, v4
	v_fma_f32 v21, -0.5, v21, v5
	v_fma_f32 v5, -0.5, v9, v5
	v_sub_f32_e32 v9, v20, v28
	v_fmac_f32_e32 v33, 0xbf167918, v24
	v_fmac_f32_e32 v4, 0xbf737871, v24
	v_fmamk_f32 v28, v8, 0x3f737871, v21
	v_fmac_f32_e32 v21, 0xbf737871, v8
	v_fmamk_f32 v20, v9, 0xbf737871, v5
	v_fmac_f32_e32 v5, 0x3f737871, v9
	v_fmac_f32_e32 v25, 0xbf167918, v32
	v_fmac_f32_e32 v28, 0x3f167918, v9
	v_fmac_f32_e32 v21, 0xbf167918, v9
	v_fmac_f32_e32 v20, 0x3f167918, v8
	v_fmac_f32_e32 v5, 0xbf167918, v8
	v_fmamk_f32 v8, v114, 0xbf737871, v40
	v_fmamk_f32 v9, v105, 0xbf737871, v109
	v_fmac_f32_e32 v109, 0x3f737871, v105
	v_fmac_f32_e32 v81, 0xbf737871, v119
	;; [unrolled: 1-line block ×10, first 2 shown]
	v_add_f32_e32 v122, v126, v135
	v_fmac_f32_e32 v4, 0x3f167918, v32
	v_fmac_f32_e32 v13, 0x3f167918, v24
	v_fmamk_f32 v32, v87, 0x3f737871, v82
	v_fmamk_f32 v24, v116, 0xbf737871, v80
	v_fmac_f32_e32 v80, 0x3f737871, v116
	v_fmamk_f32 v36, v85, 0xbf737871, v83
	v_fmac_f32_e32 v83, 0x3f737871, v85
	v_fmac_f32_e32 v0, 0xbf167918, v114
	;; [unrolled: 1-line block ×12, first 2 shown]
	v_mul_f32_e32 v85, 0x3f167918, v99
	v_mul_f32_e32 v64, 0xbf167918, v28
	;; [unrolled: 1-line block ×5, first 2 shown]
	v_fmac_f32_e32 v82, 0xbf737871, v87
	v_fmac_f32_e32 v5, 0x3e9e377a, v112
	;; [unrolled: 1-line block ×16, first 2 shown]
	v_mul_f32_e32 v25, 0xbf167918, v37
	v_mul_f32_e32 v28, 0x3f167918, v8
	;; [unrolled: 1-line block ×6, first 2 shown]
	v_fmac_f32_e32 v82, 0x3f167918, v116
	v_fmac_f32_e32 v17, 0x3e9e377a, v110
	;; [unrolled: 1-line block ×5, first 2 shown]
	v_mul_f32_e32 v87, 0xbf737871, v5
	v_mul_f32_e32 v99, 0xbe9e377a, v5
	;; [unrolled: 1-line block ×6, first 2 shown]
	v_fmac_f32_e32 v16, 0x3e9e377a, v103
	v_fmac_f32_e32 v32, 0x3e9e377a, v118
	;; [unrolled: 1-line block ×21, first 2 shown]
	v_add_nc_u32_e32 v0, 0x12c0, v98
	v_fmac_f32_e32 v88, 0x3f167918, v40
	v_add_f32_e32 v42, v86, v84
	v_add_nc_u32_e32 v103, 0x12e0, v98
	v_add_nc_u32_e32 v105, 0x12f0, v98
	v_add_f32_e32 v4, v12, v64
	v_add_f32_e32 v5, v16, v66
	v_sub_f32_e32 v8, v12, v64
	v_sub_f32_e32 v9, v16, v66
	v_add_f32_e32 v12, v65, v67
	v_add_f32_e32 v13, v17, v20
	v_sub_f32_e32 v16, v65, v67
	v_sub_f32_e32 v17, v17, v20
	;; [unrolled: 4-line block ×4, first 2 shown]
	v_add_f32_e32 v37, v83, v77
	v_sub_f32_e32 v65, v83, v77
	v_add_f32_e32 v66, v80, v78
	v_sub_f32_e32 v75, v80, v78
	v_sub_f32_e32 v77, v97, v79
	;; [unrolled: 1-line block ×3, first 2 shown]
	v_add_nc_u32_e32 v106, 0x1300, v98
	v_sub_f32_e32 v40, v86, v84
	v_add_nc_u32_e32 v102, 0x2580, v98
	v_add_nc_u32_e32 v107, 0x2590, v98
	;; [unrolled: 1-line block ×4, first 2 shown]
	v_add_f32_e32 v36, v82, v76
	v_sub_f32_e32 v64, v82, v76
	v_add_f32_e32 v67, v81, v88
	v_sub_f32_e32 v76, v81, v88
	v_add_f32_e32 v79, v97, v79
	v_add_f32_e32 v80, v100, v85
	v_add_f32_e32 v81, v123, v87
	v_add_f32_e32 v82, v124, v99
	v_sub_f32_e32 v83, v123, v87
	v_sub_f32_e32 v84, v124, v99
	v_add_f32_e32 v85, v68, v104
	v_add_f32_e32 v86, v1, v110
	v_sub_f32_e32 v87, v68, v104
	v_sub_f32_e32 v88, v1, v110
	ds_write2_b64 v101, v[71:72], v[42:43] offset1:1
	ds_write2_b64 v103, v[69:70], v[91:92] offset1:1
	;; [unrolled: 1-line block ×9, first 2 shown]
	ds_write2_b64 v98, v[28:29], v[36:37] offset0:2 offset1:3
	ds_write2_b64 v98, v[66:67], v[89:90] offset0:4 offset1:5
	;; [unrolled: 1-line block ×4, first 2 shown]
	ds_write2_b64 v0, v[93:94], v[79:80] offset1:1
	ds_write2_b64 v109, v[83:84], v[87:88] offset1:1
	s_and_saveexec_b32 s1, s0
	s_cbranch_execz .LBB0_21
; %bb.20:
	v_sub_f32_e32 v4, v19, v3
	v_sub_f32_e32 v5, v27, v35
	;; [unrolled: 1-line block ×4, first 2 shown]
	v_add_f32_e32 v41, v11, v39
	v_add_f32_e32 v43, v10, v38
	;; [unrolled: 1-line block ×4, first 2 shown]
	v_sub_f32_e32 v21, v11, v23
	v_sub_f32_e32 v24, v39, v31
	;; [unrolled: 1-line block ×3, first 2 shown]
	v_add_f32_e32 v5, v4, v5
	v_add_f32_e32 v4, v19, v27
	;; [unrolled: 1-line block ×3, first 2 shown]
	v_fma_f32 v40, -0.5, v41, v7
	v_fma_f32 v41, -0.5, v43, v6
	v_add_f32_e32 v1, v3, v35
	v_fma_f32 v17, -0.5, v9, v7
	v_fma_f32 v12, -0.5, v12, v6
	v_sub_f32_e32 v9, v11, v39
	v_add_f32_e32 v21, v21, v24
	v_sub_f32_e32 v24, v2, v34
	v_fma_f32 v36, -0.5, v4, v15
	v_fmamk_f32 v54, v33, 0xbf737871, v41
	v_fmac_f32_e32 v41, 0x3f737871, v33
	v_sub_f32_e32 v8, v18, v26
	v_fma_f32 v1, -0.5, v1, v15
	v_fmamk_f32 v32, v9, 0x3f737871, v12
	v_fmamk_f32 v42, v24, 0x3f737871, v36
	v_fmac_f32_e32 v54, 0x3f167918, v9
	v_fmac_f32_e32 v36, 0xbf737871, v24
	;; [unrolled: 1-line block ×4, first 2 shown]
	v_add_f32_e32 v9, v15, v19
	v_fmamk_f32 v20, v8, 0xbf737871, v1
	v_fmac_f32_e32 v42, 0xbf167918, v8
	v_fmac_f32_e32 v36, 0x3f167918, v8
	;; [unrolled: 1-line block ×3, first 2 shown]
	v_add_f32_e32 v8, v9, v3
	v_sub_f32_e32 v16, v10, v38
	v_sub_f32_e32 v28, v22, v30
	v_fmac_f32_e32 v20, 0xbf167918, v24
	v_fmac_f32_e32 v1, 0x3f167918, v24
	v_add_f32_e32 v8, v8, v35
	v_sub_f32_e32 v13, v10, v22
	v_fmamk_f32 v25, v16, 0xbf737871, v17
	v_sub_f32_e32 v29, v38, v30
	v_fmac_f32_e32 v20, 0x3e9e377a, v5
	v_sub_f32_e32 v43, v23, v11
	v_sub_f32_e32 v44, v31, v39
	v_fmamk_f32 v45, v28, 0x3f737871, v40
	v_fmac_f32_e32 v40, 0xbf737871, v28
	v_fmac_f32_e32 v17, 0x3f737871, v16
	v_add_f32_e32 v7, v7, v11
	v_fmac_f32_e32 v1, 0x3e9e377a, v5
	v_add_f32_e32 v5, v8, v27
	v_add_f32_e32 v8, v2, v34
	;; [unrolled: 1-line block ×3, first 2 shown]
	v_fmac_f32_e32 v25, 0xbf167918, v28
	v_add_f32_e32 v13, v13, v29
	v_sub_f32_e32 v46, v22, v10
	v_sub_f32_e32 v47, v30, v38
	v_add_f32_e32 v43, v43, v44
	v_fmac_f32_e32 v40, 0x3f167918, v16
	v_fmac_f32_e32 v12, 0xbf167918, v33
	v_fmac_f32_e32 v17, 0x3f167918, v28
	v_add_f32_e32 v7, v7, v23
	v_fma_f32 v23, -0.5, v8, v14
	v_sub_f32_e32 v8, v19, v27
	v_sub_f32_e32 v3, v3, v35
	v_fma_f32 v24, -0.5, v15, v14
	v_add_f32_e32 v14, v14, v18
	v_add_f32_e32 v6, v6, v10
	v_fmac_f32_e32 v45, 0xbf167918, v16
	v_fmac_f32_e32 v32, 0x3f167918, v33
	;; [unrolled: 1-line block ×3, first 2 shown]
	v_add_f32_e32 v44, v46, v47
	v_fmac_f32_e32 v40, 0x3e9e377a, v43
	v_fmac_f32_e32 v12, 0x3e9e377a, v13
	;; [unrolled: 1-line block ×3, first 2 shown]
	v_add_f32_e32 v7, v7, v31
	v_sub_f32_e32 v19, v18, v2
	v_sub_f32_e32 v15, v26, v34
	v_fmamk_f32 v27, v8, 0x3f737871, v23
	v_sub_f32_e32 v28, v2, v18
	v_sub_f32_e32 v31, v34, v26
	v_fmamk_f32 v33, v3, 0xbf737871, v24
	v_fmac_f32_e32 v24, 0x3f737871, v3
	v_fmac_f32_e32 v23, 0xbf737871, v8
	v_add_f32_e32 v2, v14, v2
	v_add_f32_e32 v6, v6, v22
	v_fmac_f32_e32 v45, 0x3e9e377a, v43
	v_fmac_f32_e32 v32, 0x3e9e377a, v13
	v_mul_f32_e32 v29, 0xbf4f1bbd, v25
	v_fmac_f32_e32 v41, 0x3e9e377a, v44
	v_mul_f32_e32 v16, 0x3f167918, v12
	v_add_f32_e32 v15, v19, v15
	v_fmac_f32_e32 v27, 0x3f167918, v3
	v_add_f32_e32 v19, v28, v31
	v_fmac_f32_e32 v24, 0xbf167918, v8
	v_mul_f32_e32 v18, 0xbf737871, v40
	v_fmac_f32_e32 v23, 0xbf167918, v3
	v_mul_f32_e32 v22, 0xbf167918, v17
	v_add_f32_e32 v2, v2, v34
	v_add_f32_e32 v3, v6, v30
	v_fmac_f32_e32 v42, 0x3e9e377a, v37
	v_fmac_f32_e32 v54, 0x3e9e377a, v44
	v_mul_f32_e32 v46, 0xbe9e377a, v45
	v_fmac_f32_e32 v36, 0x3e9e377a, v37
	v_mul_f32_e32 v37, 0x3e9e377a, v40
	;; [unrolled: 2-line block ×3, first 2 shown]
	v_mul_f32_e32 v25, 0xbf167918, v25
	v_fmac_f32_e32 v29, 0x3f167918, v32
	v_fmac_f32_e32 v16, 0x3f4f1bbd, v17
	v_add_f32_e32 v21, v7, v39
	v_fmac_f32_e32 v24, 0x3e9e377a, v19
	v_fmac_f32_e32 v18, 0x3e9e377a, v41
	;; [unrolled: 1-line block ×4, first 2 shown]
	v_add_f32_e32 v26, v2, v26
	v_add_f32_e32 v30, v3, v38
	v_fmac_f32_e32 v46, 0x3f737871, v54
	v_fmac_f32_e32 v37, 0x3f737871, v41
	;; [unrolled: 1-line block ×6, first 2 shown]
	v_sub_f32_e32 v4, v20, v29
	v_sub_f32_e32 v11, v1, v16
	v_sub_f32_e32 v13, v5, v21
	v_sub_f32_e32 v8, v24, v18
	v_add_f32_e32 v2, v20, v29
	v_add_f32_e32 v19, v1, v16
	;; [unrolled: 1-line block ×6, first 2 shown]
	v_add_nc_u32_e32 v5, 0x2580, v0
	v_sub_f32_e32 v10, v23, v22
	v_add_f32_e32 v15, v42, v46
	v_add_f32_e32 v17, v36, v37
	;; [unrolled: 1-line block ×3, first 2 shown]
	v_add_nc_u32_e32 v22, 0x2590, v0
	v_sub_f32_e32 v12, v26, v30
	v_add_f32_e32 v1, v27, v25
	v_add_nc_u32_e32 v23, 0x25a0, v0
	v_sub_f32_e32 v9, v36, v37
	v_add_nc_u32_e32 v24, 0x25b0, v0
	v_sub_f32_e32 v7, v42, v46
	v_sub_f32_e32 v3, v27, v25
	;; [unrolled: 1-line block ×3, first 2 shown]
	v_add_nc_u32_e32 v0, 0x25c0, v0
	ds_write2_b64 v5, v[20:21], v[18:19] offset1:1
	ds_write2_b64 v22, v[16:17], v[14:15] offset1:1
	;; [unrolled: 1-line block ×5, first 2 shown]
.LBB0_21:
	s_or_b32 exec_lo, exec_lo, s1
	v_add_nc_u32_e32 v4, 0xf0, v48
	v_mov_b32_e32 v0, 0xcccd
	v_add_nc_u32_e32 v5, 0x12c, v48
	v_mov_b32_e32 v8, 5
	v_and_b32_e32 v6, 0xff, v48
	v_add_nc_u32_e32 v11, 60, v48
	v_mul_u32_u24_sdwa v1, v4, v0 dst_sel:DWORD dst_unused:UNUSED_PAD src0_sel:WORD_0 src1_sel:DWORD
	v_mul_u32_u24_sdwa v0, v5, v0 dst_sel:DWORD dst_unused:UNUSED_PAD src0_sel:WORD_0 src1_sel:DWORD
	s_waitcnt lgkmcnt(0)
	v_mul_lo_u16 v6, 0xcd, v6
	s_barrier
	v_lshrrev_b32_e32 v16, 19, v1
	v_lshrrev_b32_e32 v14, 19, v0
	buffer_gl0_inv
	v_lshrrev_b16 v21, 11, v6
	v_and_b32_e32 v6, 0xff, v11
	v_mul_lo_u16 v0, v16, 10
	v_mul_lo_u16 v1, v14, 10
	v_mul_u32_u24_e32 v16, 0x1e0, v16
	v_mul_lo_u16 v10, v21, 10
	v_mul_lo_u16 v6, 0xcd, v6
	v_sub_nc_u16 v17, v4, v0
	v_sub_nc_u16 v15, v5, v1
	v_mul_u32_u24_e32 v14, 0x1e0, v14
	v_sub_nc_u16 v24, v48, v10
	v_lshrrev_b16 v20, 11, v6
	v_mul_u32_u24_sdwa v0, v17, v8 dst_sel:DWORD dst_unused:UNUSED_PAD src0_sel:WORD_0 src1_sel:DWORD
	v_mul_u32_u24_sdwa v1, v15, v8 dst_sel:DWORD dst_unused:UNUSED_PAD src0_sel:WORD_0 src1_sel:DWORD
	v_add_nc_u16 v6, v48, 0x78
	v_mul_u32_u24_sdwa v10, v24, v8 dst_sel:DWORD dst_unused:UNUSED_PAD src0_sel:BYTE_0 src1_sel:DWORD
	v_mul_lo_u16 v12, v20, 10
	v_lshlrev_b32_e32 v7, 3, v0
	v_lshlrev_b32_e32 v9, 3, v1
	v_and_b32_e32 v13, 0xff, v6
	v_lshlrev_b32_e32 v10, 3, v10
	v_sub_nc_u16 v22, v11, v12
	s_clause 0x6
	global_load_dwordx4 v[0:3], v7, s[12:13]
	global_load_dwordx4 v[44:47], v7, s[12:13] offset:16
	global_load_dwordx4 v[29:32], v9, s[12:13]
	global_load_dwordx4 v[64:67], v9, s[12:13] offset:16
	global_load_dwordx4 v[68:71], v10, s[12:13]
	global_load_dwordx2 v[54:55], v7, s[12:13] offset:32
	global_load_dwordx2 v[140:141], v9, s[12:13] offset:32
	v_add_nc_u16 v7, v48, 0xb4
	v_mul_u32_u24_sdwa v9, v22, v8 dst_sel:DWORD dst_unused:UNUSED_PAD src0_sel:BYTE_0 src1_sel:DWORD
	v_mul_lo_u16 v18, 0xcd, v13
	global_load_dwordx4 v[76:79], v10, s[12:13] offset:16
	v_and_b32_e32 v12, 0xff, v7
	v_lshlrev_b32_e32 v9, 3, v9
	v_lshrrev_b16 v23, 11, v18
	v_mul_lo_u16 v18, 0xcd, v12
	s_clause 0x1
	global_load_dwordx4 v[72:75], v9, s[12:13]
	global_load_dwordx4 v[80:83], v9, s[12:13] offset:16
	v_mul_lo_u16 v19, v23, 10
	v_lshrrev_b16 v18, 11, v18
	v_sub_nc_u16 v25, v6, v19
	v_mul_lo_u16 v19, v18, 10
	v_mul_u32_u24_sdwa v26, v25, v8 dst_sel:DWORD dst_unused:UNUSED_PAD src0_sel:BYTE_0 src1_sel:DWORD
	v_sub_nc_u16 v19, v7, v19
	v_lshlrev_b32_e32 v26, 3, v26
	v_mul_u32_u24_sdwa v8, v19, v8 dst_sel:DWORD dst_unused:UNUSED_PAD src0_sel:BYTE_0 src1_sel:DWORD
	global_load_dwordx4 v[84:87], v26, s[12:13]
	v_lshlrev_b32_e32 v8, 3, v8
	s_clause 0x6
	global_load_dwordx4 v[88:91], v8, s[12:13]
	global_load_dwordx2 v[142:143], v10, s[12:13] offset:32
	global_load_dwordx2 v[144:145], v9, s[12:13] offset:32
	global_load_dwordx4 v[92:95], v26, s[12:13] offset:16
	global_load_dwordx2 v[146:147], v26, s[12:13] offset:32
	global_load_dwordx4 v[96:99], v8, s[12:13] offset:16
	global_load_dwordx2 v[148:149], v8, s[12:13] offset:32
	ds_read2_b64 v[100:103], v49 offset0:88 offset1:148
	ds_read2_b64 v[104:107], v57 offset0:192 offset1:252
	;; [unrolled: 1-line block ×8, first 2 shown]
	v_add_nc_u32_e32 v8, 0x3c00, v56
	v_add_nc_u32_e32 v9, 0x1400, v56
	;; [unrolled: 1-line block ×3, first 2 shown]
	ds_read2_b64 v[132:135], v57 offset0:72 offset1:132
	ds_read2_b64 v[136:139], v60 offset0:176 offset1:236
	s_waitcnt vmcnt(17) lgkmcnt(9)
	v_mul_f32_e32 v36, v101, v1
	v_mul_f32_e32 v1, v100, v1
	s_waitcnt vmcnt(15)
	v_mul_f32_e32 v26, v103, v30
	v_mul_f32_e32 v27, v102, v30
	s_waitcnt lgkmcnt(8)
	v_mul_f32_e32 v40, v105, v3
	v_mul_f32_e32 v3, v104, v3
	v_fmac_f32_e32 v36, v100, v0
	v_fma_f32 v37, v101, v0, -v1
	v_fmac_f32_e32 v26, v102, v29
	v_fma_f32 v27, v103, v29, -v27
	ds_read2_b64 v[100:103], v8 offset0:120 offset1:180
	v_mul_f32_e32 v30, v107, v32
	v_fmac_f32_e32 v40, v104, v2
	v_fma_f32 v42, v105, v2, -v3
	v_mul_f32_e32 v28, v106, v32
	ds_read2_b64 v[0:3], v9 offset0:80 offset1:140
	v_fmac_f32_e32 v30, v106, v31
	s_waitcnt lgkmcnt(7)
	v_mul_f32_e32 v38, v117, v45
	v_mul_f32_e32 v29, v116, v45
	v_fma_f32 v33, v107, v31, -v28
	s_waitcnt lgkmcnt(6)
	v_mul_f32_e32 v31, v120, v47
	v_mul_f32_e32 v45, v121, v47
	v_fmac_f32_e32 v38, v116, v44
	v_fma_f32 v39, v117, v44, -v29
	s_waitcnt vmcnt(13)
	v_mul_f32_e32 v116, v109, v69
	v_fma_f32 v41, v121, v46, -v31
	v_mul_f32_e32 v31, v122, v67
	v_fmac_f32_e32 v45, v120, v46
	v_mul_f32_e32 v46, v108, v69
	v_mul_f32_e32 v28, v119, v65
	s_waitcnt vmcnt(11) lgkmcnt(1)
	v_mul_f32_e32 v47, v102, v141
	v_fma_f32 v34, v123, v66, -v31
	v_mul_f32_e32 v31, v100, v55
	v_mul_f32_e32 v44, v101, v55
	;; [unrolled: 1-line block ×3, first 2 shown]
	s_waitcnt lgkmcnt(0)
	v_mul_f32_e32 v55, v1, v71
	v_mul_f32_e32 v35, v123, v67
	v_fma_f32 v43, v101, v54, -v31
	v_fma_f32 v31, v103, v140, -v47
	v_mul_f32_e32 v47, v0, v71
	v_fmac_f32_e32 v116, v108, v68
	v_fma_f32 v108, v109, v68, -v46
	v_fmac_f32_e32 v55, v0, v70
	s_waitcnt vmcnt(9)
	v_mul_f32_e32 v109, v111, v73
	v_mul_f32_e32 v0, v110, v73
	v_fma_f32 v46, v1, v70, -v47
	ds_read2_b64 v[68:71], v10 offset0:96 offset1:156
	v_fmac_f32_e32 v28, v118, v64
	v_fma_f32 v29, v119, v64, -v32
	ds_read2_b64 v[104:107], v59 offset0:24 offset1:84
	v_fmac_f32_e32 v35, v122, v66
	ds_read2_b64 v[64:67], v63 offset0:128 offset1:188
	v_mul_f32_e32 v32, v103, v141
	v_fmac_f32_e32 v109, v110, v72
	v_fma_f32 v110, v111, v72, -v0
	v_mul_f32_e32 v0, v2, v75
	v_fmac_f32_e32 v44, v100, v54
	v_fmac_f32_e32 v32, v102, v140
	ds_read2_b64 v[100:103], v56 offset1:60
	v_mul_f32_e32 v54, v113, v77
	v_mul_f32_e32 v1, v112, v77
	;; [unrolled: 1-line block ×3, first 2 shown]
	v_fma_f32 v111, v3, v74, -v0
	v_mul_f32_e32 v0, v124, v79
	s_waitcnt vmcnt(8)
	v_mul_f32_e32 v79, v115, v81
	v_mul_f32_e32 v81, v114, v81
	;; [unrolled: 1-line block ×3, first 2 shown]
	v_fmac_f32_e32 v54, v112, v76
	v_mul_f32_e32 v112, v127, v83
	v_fmac_f32_e32 v79, v114, v80
	v_fma_f32 v80, v115, v80, -v81
	v_mul_f32_e32 v81, v126, v83
	v_fmac_f32_e32 v47, v2, v74
	ds_read2_b64 v[72:75], v56 offset0:120 offset1:180
	v_fma_f32 v76, v113, v76, -v1
	s_waitcnt vmcnt(7) lgkmcnt(4)
	v_mul_f32_e32 v83, v69, v85
	v_mul_f32_e32 v85, v68, v85
	;; [unrolled: 1-line block ×3, first 2 shown]
	v_fmac_f32_e32 v112, v126, v82
	v_fma_f32 v81, v127, v82, -v81
	v_mul_f32_e32 v82, v132, v87
	s_waitcnt vmcnt(6)
	v_mul_f32_e32 v87, v71, v89
	v_mul_f32_e32 v89, v70, v89
	;; [unrolled: 1-line block ×4, first 2 shown]
	s_waitcnt vmcnt(5)
	v_mul_f32_e32 v115, v129, v143
	v_mul_f32_e32 v117, v128, v143
	v_fmac_f32_e32 v83, v68, v84
	v_fma_f32 v84, v69, v84, -v85
	v_fmac_f32_e32 v113, v132, v86
	v_fma_f32 v68, v133, v86, -v82
	s_waitcnt vmcnt(4)
	v_mul_f32_e32 v69, v130, v145
	s_waitcnt vmcnt(3)
	v_mul_f32_e32 v82, v137, v93
	v_mul_f32_e32 v85, v136, v93
	s_waitcnt lgkmcnt(3)
	v_mul_f32_e32 v86, v105, v95
	v_fmac_f32_e32 v87, v70, v88
	v_fma_f32 v88, v71, v88, -v89
	v_mul_f32_e32 v70, v104, v95
	s_waitcnt vmcnt(2) lgkmcnt(2)
	v_mul_f32_e32 v71, v65, v147
	v_mul_f32_e32 v89, v64, v147
	s_waitcnt vmcnt(1)
	v_mul_f32_e32 v93, v139, v97
	v_fmac_f32_e32 v114, v134, v90
	v_fma_f32 v90, v135, v90, -v91
	v_mul_f32_e32 v91, v138, v97
	v_mul_f32_e32 v95, v107, v99
	;; [unrolled: 1-line block ×3, first 2 shown]
	s_waitcnt vmcnt(0)
	v_mul_f32_e32 v99, v67, v149
	v_mul_f32_e32 v119, v66, v149
	v_fmac_f32_e32 v77, v124, v78
	v_fma_f32 v78, v125, v78, -v0
	v_mul_f32_e32 v118, v131, v145
	v_fmac_f32_e32 v115, v128, v142
	v_fma_f32 v117, v129, v142, -v117
	v_fma_f32 v69, v131, v144, -v69
	v_fmac_f32_e32 v86, v104, v94
	v_fma_f32 v70, v105, v94, -v70
	v_fmac_f32_e32 v71, v64, v146
	v_fma_f32 v64, v65, v146, -v89
	v_fma_f32 v89, v107, v98, -v97
	v_fmac_f32_e32 v99, v66, v148
	v_fma_f32 v66, v67, v148, -v119
	s_waitcnt lgkmcnt(1)
	v_add_f32_e32 v67, v100, v55
	v_add_f32_e32 v94, v101, v46
	;; [unrolled: 1-line block ×3, first 2 shown]
	v_fmac_f32_e32 v118, v130, v144
	v_fmac_f32_e32 v82, v136, v92
	v_fma_f32 v85, v137, v92, -v85
	v_fmac_f32_e32 v93, v138, v96
	v_fma_f32 v65, v139, v96, -v91
	v_fmac_f32_e32 v95, v106, v98
	v_add_f32_e32 v91, v55, v77
	v_sub_f32_e32 v92, v46, v78
	v_add_f32_e32 v46, v46, v78
	v_sub_f32_e32 v96, v55, v77
	v_add_f32_e32 v55, v116, v54
	v_add_f32_e32 v98, v54, v115
	v_sub_f32_e32 v104, v76, v117
	v_add_f32_e32 v76, v76, v117
	v_sub_f32_e32 v105, v54, v115
	v_add_f32_e32 v54, v67, v77
	v_add_f32_e32 v67, v94, v78
	;; [unrolled: 1-line block ×3, first 2 shown]
	v_sub_f32_e32 v117, v80, v69
	v_add_f32_e32 v119, v110, v80
	v_add_f32_e32 v80, v80, v69
	v_fma_f32 v77, -0.5, v91, v100
	v_fma_f32 v91, -0.5, v46, v101
	v_add_f32_e32 v55, v55, v115
	v_add_f32_e32 v94, v102, v47
	;; [unrolled: 1-line block ×3, first 2 shown]
	v_sub_f32_e32 v100, v111, v81
	v_add_f32_e32 v101, v103, v111
	v_add_f32_e32 v106, v111, v81
	;; [unrolled: 1-line block ×4, first 2 shown]
	v_sub_f32_e32 v79, v79, v118
	v_add_f32_e32 v121, v113, v86
	s_waitcnt lgkmcnt(0)
	v_add_f32_e32 v123, v73, v68
	v_add_f32_e32 v124, v83, v82
	v_sub_f32_e32 v126, v85, v64
	v_add_f32_e32 v127, v84, v85
	v_add_f32_e32 v85, v85, v64
	;; [unrolled: 1-line block ×5, first 2 shown]
	v_sub_f32_e32 v134, v65, v66
	v_add_f32_e32 v135, v88, v65
	v_add_f32_e32 v65, v65, v66
	v_fmac_f32_e32 v108, -0.5, v76
	v_fmac_f32_e32 v110, -0.5, v80
	ds_read2_b64 v[0:3], v62 offset0:112 offset1:172
	v_sub_f32_e32 v107, v47, v112
	v_add_f32_e32 v120, v72, v113
	v_sub_f32_e32 v122, v68, v70
	v_add_f32_e32 v68, v68, v70
	v_add_f32_e32 v125, v82, v71
	v_sub_f32_e32 v82, v82, v71
	v_sub_f32_e32 v130, v90, v89
	v_add_f32_e32 v90, v90, v89
	v_add_f32_e32 v133, v93, v99
	v_sub_f32_e32 v93, v93, v99
	v_fmac_f32_e32 v116, -0.5, v98
	v_add_f32_e32 v46, v54, v55
	v_add_f32_e32 v47, v67, v78
	v_sub_f32_e32 v54, v54, v55
	v_sub_f32_e32 v55, v67, v78
	v_add_f32_e32 v67, v94, v112
	v_add_f32_e32 v76, v101, v81
	;; [unrolled: 1-line block ×3, first 2 shown]
	v_fmac_f32_e32 v109, -0.5, v115
	v_add_f32_e32 v69, v119, v69
	v_fma_f32 v94, -0.5, v97, v102
	v_fma_f32 v101, -0.5, v121, v72
	v_add_f32_e32 v72, v123, v70
	v_add_f32_e32 v70, v124, v71
	;; [unrolled: 1-line block ×3, first 2 shown]
	v_fmac_f32_e32 v84, -0.5, v85
	v_add_f32_e32 v81, v128, v95
	v_add_f32_e32 v111, v131, v89
	;; [unrolled: 1-line block ×3, first 2 shown]
	v_fmac_f32_e32 v88, -0.5, v65
	v_fmamk_f32 v89, v105, 0x3f5db3d7, v108
	v_fmac_f32_e32 v108, 0xbf5db3d7, v105
	v_fmamk_f32 v97, v79, 0x3f5db3d7, v110
	v_fmac_f32_e32 v110, 0xbf5db3d7, v79
	v_sub_f32_e32 v113, v113, v86
	v_add_f32_e32 v129, v114, v95
	v_sub_f32_e32 v114, v114, v95
	v_fmamk_f32 v98, v92, 0xbf5db3d7, v77
	v_fmac_f32_e32 v77, 0x3f5db3d7, v92
	v_fmamk_f32 v92, v96, 0x3f5db3d7, v91
	v_fmac_f32_e32 v91, 0xbf5db3d7, v96
	v_fmac_f32_e32 v103, -0.5, v106
	v_add_f32_e32 v80, v120, v86
	v_fmac_f32_e32 v83, -0.5, v125
	v_fmac_f32_e32 v75, -0.5, v90
	v_add_f32_e32 v112, v135, v66
	v_fmamk_f32 v86, v104, 0xbf5db3d7, v116
	v_fmamk_f32 v90, v100, 0xbf5db3d7, v94
	v_fmac_f32_e32 v94, 0x3f5db3d7, v100
	v_fmamk_f32 v96, v117, 0xbf5db3d7, v109
	v_fmac_f32_e32 v109, 0x3f5db3d7, v117
	v_add_f32_e32 v64, v67, v78
	v_add_f32_e32 v65, v76, v69
	v_sub_f32_e32 v66, v67, v78
	v_sub_f32_e32 v67, v76, v69
	v_fmamk_f32 v79, v82, 0x3f5db3d7, v84
	v_fmac_f32_e32 v84, 0xbf5db3d7, v82
	v_add_f32_e32 v69, v72, v71
	v_sub_f32_e32 v71, v72, v71
	v_fmamk_f32 v82, v93, 0x3f5db3d7, v88
	v_fmac_f32_e32 v88, 0xbf5db3d7, v93
	v_add_f32_e32 v72, v81, v85
	v_sub_f32_e32 v76, v81, v85
	v_mul_f32_e32 v85, 0xbf5db3d7, v89
	v_mul_f32_e32 v93, 0xbf5db3d7, v108
	v_mul_f32_e32 v89, 0.5, v89
	v_mul_f32_e32 v100, -0.5, v108
	v_mul_f32_e32 v108, 0xbf5db3d7, v110
	v_fma_f32 v102, -0.5, v68, v73
	v_fmac_f32_e32 v87, -0.5, v133
	v_fmac_f32_e32 v116, 0x3f5db3d7, v104
	v_fmamk_f32 v95, v107, 0x3f5db3d7, v103
	v_fmac_f32_e32 v103, 0xbf5db3d7, v107
	v_fmamk_f32 v78, v126, 0xbf5db3d7, v83
	;; [unrolled: 2-line block ×3, first 2 shown]
	v_fmac_f32_e32 v75, 0xbf5db3d7, v114
	v_mul_f32_e32 v110, -0.5, v110
	v_mul_f32_e32 v114, 0xbf5db3d7, v84
	v_mul_f32_e32 v117, -0.5, v84
	v_fmac_f32_e32 v89, 0x3f5db3d7, v86
	v_fmac_f32_e32 v108, -0.5, v109
	v_fmamk_f32 v104, v113, 0x3f5db3d7, v102
	v_fmac_f32_e32 v102, 0xbf5db3d7, v113
	v_add_f32_e32 v68, v80, v70
	v_sub_f32_e32 v70, v80, v70
	v_fmamk_f32 v80, v134, 0xbf5db3d7, v87
	v_mul_f32_e32 v113, 0xbf5db3d7, v79
	v_mul_f32_e32 v115, 0.5, v79
	v_mul_f32_e32 v118, 0xbf5db3d7, v82
	v_mul_f32_e32 v119, 0xbf5db3d7, v88
	v_mul_f32_e32 v120, 0.5, v82
	v_mul_f32_e32 v121, -0.5, v88
	v_fmac_f32_e32 v93, -0.5, v116
	v_fmac_f32_e32 v110, 0x3f5db3d7, v109
	v_fmac_f32_e32 v114, -0.5, v83
	v_fmac_f32_e32 v117, 0x3f5db3d7, v83
	v_add_f32_e32 v79, v92, v89
	v_sub_f32_e32 v83, v92, v89
	v_add_f32_e32 v88, v94, v108
	v_sub_f32_e32 v92, v94, v108
	v_add_f32_e32 v108, v40, v45
	v_fmac_f32_e32 v118, 0.5, v80
	v_fmac_f32_e32 v120, 0x3f5db3d7, v80
	v_add_f32_e32 v80, v77, v93
	v_sub_f32_e32 v84, v77, v93
	v_add_f32_e32 v89, v103, v110
	v_sub_f32_e32 v93, v103, v110
	s_waitcnt lgkmcnt(0)
	v_add_f32_e32 v109, v0, v40
	v_add_f32_e32 v110, v42, v41
	v_fma_f32 v108, -0.5, v108, v0
	v_sub_f32_e32 v0, v42, v41
	v_add_f32_e32 v42, v1, v42
	v_add_f32_e32 v109, v109, v45
	v_fma_f32 v110, -0.5, v110, v1
	v_sub_f32_e32 v1, v40, v45
	v_fmamk_f32 v45, v0, 0xbf5db3d7, v108
	v_fmac_f32_e32 v108, 0x3f5db3d7, v0
	v_add_f32_e32 v0, v39, v43
	v_add_f32_e32 v41, v42, v41
	;; [unrolled: 1-line block ×5, first 2 shown]
	v_fmac_f32_e32 v37, -0.5, v0
	v_sub_f32_e32 v0, v38, v44
	v_sub_f32_e32 v77, v111, v112
	v_fmamk_f32 v111, v1, 0x3f5db3d7, v110
	v_add_f32_e32 v38, v36, v38
	v_fmac_f32_e32 v36, -0.5, v40
	v_sub_f32_e32 v39, v39, v43
	v_fmac_f32_e32 v110, 0xbf5db3d7, v1
	v_fmamk_f32 v1, v0, 0x3f5db3d7, v37
	v_fmac_f32_e32 v37, 0xbf5db3d7, v0
	v_fmamk_f32 v99, v122, 0xbf5db3d7, v101
	v_fmac_f32_e32 v101, 0x3f5db3d7, v122
	v_mul_f32_e32 v105, 0xbf5db3d7, v97
	v_mul_f32_e32 v97, 0.5, v97
	v_fmac_f32_e32 v85, 0.5, v86
	v_fmac_f32_e32 v100, 0x3f5db3d7, v116
	v_fmac_f32_e32 v113, 0.5, v78
	v_add_f32_e32 v40, v38, v44
	v_fmamk_f32 v38, v39, 0xbf5db3d7, v36
	v_fmac_f32_e32 v36, 0x3f5db3d7, v39
	v_mul_f32_e32 v44, 0xbf5db3d7, v1
	v_mul_f32_e32 v112, 0xbf5db3d7, v37
	v_fmac_f32_e32 v105, 0.5, v96
	v_fmac_f32_e32 v97, 0x3f5db3d7, v96
	v_fmac_f32_e32 v115, 0x3f5db3d7, v78
	v_add_f32_e32 v78, v98, v85
	v_add_f32_e32 v81, v91, v100
	v_sub_f32_e32 v82, v98, v85
	v_sub_f32_e32 v85, v91, v100
	v_add_f32_e32 v94, v99, v113
	v_add_f32_e32 v96, v101, v114
	v_sub_f32_e32 v98, v99, v113
	v_sub_f32_e32 v100, v101, v114
	v_mul_f32_e32 v113, 0.5, v1
	v_mul_f32_e32 v114, -0.5, v37
	v_fmac_f32_e32 v44, 0.5, v38
	v_fmac_f32_e32 v112, -0.5, v36
	v_add_f32_e32 v43, v42, v43
	v_fmac_f32_e32 v113, 0x3f5db3d7, v38
	v_fmac_f32_e32 v114, 0x3f5db3d7, v36
	v_add_f32_e32 v36, v45, v44
	v_add_f32_e32 v38, v108, v112
	v_sub_f32_e32 v42, v45, v44
	v_sub_f32_e32 v44, v108, v112
	v_add_f32_e32 v108, v30, v35
	v_add_f32_e32 v0, v109, v40
	v_sub_f32_e32 v40, v109, v40
	v_add_f32_e32 v109, v2, v30
	v_add_f32_e32 v39, v110, v114
	v_fma_f32 v2, -0.5, v108, v2
	v_sub_f32_e32 v108, v33, v34
	v_sub_f32_e32 v45, v110, v114
	v_add_f32_e32 v110, v33, v34
	v_add_f32_e32 v109, v109, v35
	;; [unrolled: 1-line block ×3, first 2 shown]
	v_sub_f32_e32 v30, v30, v35
	v_fmamk_f32 v35, v108, 0xbf5db3d7, v2
	v_fmac_f32_e32 v2, 0x3f5db3d7, v108
	v_add_f32_e32 v108, v29, v31
	v_add_f32_e32 v1, v41, v43
	;; [unrolled: 1-line block ×3, first 2 shown]
	v_sub_f32_e32 v41, v41, v43
	v_sub_f32_e32 v43, v111, v113
	v_fmac_f32_e32 v3, -0.5, v110
	v_add_f32_e32 v34, v33, v34
	v_add_f32_e32 v33, v28, v32
	;; [unrolled: 1-line block ×3, first 2 shown]
	v_fmac_f32_e32 v27, -0.5, v108
	v_sub_f32_e32 v108, v28, v32
	v_fmamk_f32 v110, v30, 0x3f5db3d7, v3
	v_add_f32_e32 v28, v26, v28
	v_fmac_f32_e32 v26, -0.5, v33
	v_sub_f32_e32 v29, v29, v31
	v_fmac_f32_e32 v3, 0xbf5db3d7, v30
	v_fmamk_f32 v30, v108, 0x3f5db3d7, v27
	v_fmac_f32_e32 v27, 0xbf5db3d7, v108
	v_add_f32_e32 v33, v28, v32
	v_fmamk_f32 v28, v29, 0xbf5db3d7, v26
	v_fmac_f32_e32 v26, 0x3f5db3d7, v29
	v_mul_f32_e32 v108, 0xbf5db3d7, v30
	v_mul_f32_e32 v112, 0xbf5db3d7, v27
	v_mul_f32_e32 v114, -0.5, v27
	v_fma_f32 v74, -0.5, v129, v74
	v_fmac_f32_e32 v87, 0x3f5db3d7, v134
	v_fmac_f32_e32 v108, 0.5, v28
	v_fmac_f32_e32 v112, -0.5, v26
	v_fmac_f32_e32 v114, 0x3f5db3d7, v26
	v_mov_b32_e32 v26, 0x1e0
	v_fmamk_f32 v106, v130, 0xbf5db3d7, v74
	v_add_f32_e32 v29, v35, v108
	v_sub_f32_e32 v108, v35, v108
	v_mov_b32_e32 v35, 3
	v_mul_u32_u24_sdwa v21, v21, v26 dst_sel:DWORD dst_unused:UNUSED_PAD src0_sel:WORD_0 src1_sel:DWORD
	v_mul_u32_u24_sdwa v20, v20, v26 dst_sel:DWORD dst_unused:UNUSED_PAD src0_sel:WORD_0 src1_sel:DWORD
	;; [unrolled: 1-line block ×3, first 2 shown]
	v_fmac_f32_e32 v74, 0x3f5db3d7, v130
	v_lshlrev_b32_sdwa v24, v35, v24 dst_sel:DWORD dst_unused:UNUSED_PAD src0_sel:DWORD src1_sel:BYTE_0
	v_lshlrev_b32_sdwa v22, v35, v22 dst_sel:DWORD dst_unused:UNUSED_PAD src0_sel:DWORD src1_sel:BYTE_0
	;; [unrolled: 1-line block ×3, first 2 shown]
	v_lshlrev_b32_sdwa v17, v35, v17 dst_sel:DWORD dst_unused:UNUSED_PAD src0_sel:DWORD src1_sel:WORD_0
	v_fmac_f32_e32 v119, -0.5, v87
	v_add3_u32 v21, 0, v21, v24
	v_add3_u32 v20, 0, v20, v22
	v_mul_u32_u24_sdwa v22, v23, v26 dst_sel:DWORD dst_unused:UNUSED_PAD src0_sel:WORD_0 src1_sel:DWORD
	v_lshlrev_b32_sdwa v23, v35, v25 dst_sel:DWORD dst_unused:UNUSED_PAD src0_sel:DWORD src1_sel:BYTE_0
	v_fmac_f32_e32 v121, 0x3f5db3d7, v87
	v_mul_f32_e32 v113, 0.5, v30
	v_add_f32_e32 v86, v90, v105
	v_add_f32_e32 v87, v95, v97
	v_sub_f32_e32 v91, v95, v97
	v_add_f32_e32 v95, v104, v115
	v_add_f32_e32 v97, v102, v117
	v_sub_f32_e32 v99, v104, v115
	v_sub_f32_e32 v101, v102, v117
	v_add_f32_e32 v102, v106, v118
	v_add_f32_e32 v103, v107, v120
	s_barrier
	buffer_gl0_inv
	ds_write2_b64 v21, v[46:47], v[78:79] offset1:10
	ds_write2_b64 v21, v[80:81], v[54:55] offset0:20 offset1:30
	ds_write2_b64 v21, v[82:83], v[84:85] offset0:40 offset1:50
	ds_write2_b64 v20, v[64:65], v[86:87] offset1:10
	v_add3_u32 v21, 0, v22, v23
	v_add3_u32 v18, 0, v18, v19
	;; [unrolled: 1-line block ×3, first 2 shown]
	v_sub_f32_e32 v90, v90, v105
	v_add_f32_e32 v104, v74, v119
	v_add_f32_e32 v105, v75, v121
	v_sub_f32_e32 v106, v106, v118
	v_sub_f32_e32 v74, v74, v119
	v_sub_f32_e32 v107, v107, v120
	v_sub_f32_e32 v75, v75, v121
	v_add_f32_e32 v111, v111, v31
	v_fmac_f32_e32 v113, 0x3f5db3d7, v28
	v_lshlrev_b32_sdwa v15, v35, v15 dst_sel:DWORD dst_unused:UNUSED_PAD src0_sel:DWORD src1_sel:WORD_0
	ds_write2_b64 v20, v[88:89], v[66:67] offset0:20 offset1:30
	ds_write2_b64 v20, v[90:91], v[92:93] offset0:40 offset1:50
	ds_write2_b64 v21, v[68:69], v[94:95] offset1:10
	ds_write2_b64 v21, v[96:97], v[70:71] offset0:20 offset1:30
	ds_write2_b64 v21, v[98:99], v[100:101] offset0:40 offset1:50
	ds_write2_b64 v18, v[72:73], v[102:103] offset1:10
	;; [unrolled: 3-line block ×3, first 2 shown]
	ds_write2_b64 v16, v[38:39], v[40:41] offset0:20 offset1:30
	v_mul_lo_u16 v1, 0x89, v13
	v_add_f32_e32 v27, v109, v33
	v_add_f32_e32 v28, v34, v111
	;; [unrolled: 1-line block ×3, first 2 shown]
	v_add3_u32 v14, 0, v14, v15
	v_add_f32_e32 v31, v2, v112
	v_add_f32_e32 v32, v3, v114
	v_sub_f32_e32 v33, v109, v33
	v_sub_f32_e32 v34, v34, v111
	;; [unrolled: 1-line block ×5, first 2 shown]
	v_lshrrev_b16 v1, 13, v1
	v_mul_u32_u24_e32 v0, 5, v48
	ds_write2_b64 v16, v[42:43], v[44:45] offset0:40 offset1:50
	ds_write2_b64 v14, v[27:28], v[29:30] offset1:10
	ds_write2_b64 v14, v[31:32], v[33:34] offset0:20 offset1:30
	ds_write2_b64 v14, v[108:109], v[2:3] offset0:40 offset1:50
	v_mul_lo_u16 v2, 0x89, v12
	v_mov_b32_e32 v3, 0x8889
	v_mul_lo_u16 v1, v1, 60
	v_lshlrev_b32_e32 v0, 3, v0
	s_waitcnt lgkmcnt(0)
	v_lshrrev_b16 v2, 13, v2
	s_barrier
	v_sub_nc_u16 v1, v6, v1
	buffer_gl0_inv
	s_clause 0x1
	global_load_dwordx4 v[18:21], v0, s[12:13] offset:400
	global_load_dwordx4 v[22:25], v0, s[12:13] offset:416
	v_mul_lo_u16 v2, v2, 60
	v_mul_u32_u24_sdwa v6, v4, v3 dst_sel:DWORD dst_unused:UNUSED_PAD src0_sel:WORD_0 src1_sel:DWORD
	v_and_b32_e32 v15, 0xff, v1
	v_mul_u32_u24_sdwa v3, v5, v3 dst_sel:DWORD dst_unused:UNUSED_PAD src0_sel:WORD_0 src1_sel:DWORD
	global_load_dwordx2 v[46:47], v0, s[12:13] offset:432
	v_sub_nc_u16 v2, v7, v2
	v_lshrrev_b32_e32 v6, 21, v6
	v_mul_u32_u24_e32 v1, 5, v15
	v_lshrrev_b32_e32 v3, 21, v3
	v_add_co_u32 v12, s0, s12, v0
	v_and_b32_e32 v14, 0xff, v2
	v_mul_lo_u16 v6, v6, 60
	v_lshlrev_b32_e32 v1, 3, v1
	v_mul_lo_u16 v3, v3, 60
	v_lshl_add_u32 v15, v15, 3, 0
	v_mul_u32_u24_e32 v2, 5, v14
	v_sub_nc_u16 v4, v4, v6
	s_clause 0x2
	global_load_dwordx4 v[26:29], v1, s[12:13] offset:400
	global_load_dwordx4 v[34:37], v1, s[12:13] offset:416
	global_load_dwordx2 v[54:55], v1, s[12:13] offset:432
	v_sub_nc_u16 v1, v5, v3
	v_lshlrev_b32_e32 v2, 3, v2
	v_and_b32_e32 v17, 0xffff, v4
	v_lshl_add_u32 v14, v14, 3, 0
	v_add_co_ci_u32_e64 v13, null, s13, 0, s0
	v_and_b32_e32 v16, 0xffff, v1
	s_clause 0x1
	global_load_dwordx4 v[30:33], v2, s[12:13] offset:400
	global_load_dwordx4 v[38:41], v2, s[12:13] offset:416
	v_mul_u32_u24_e32 v4, 5, v17
	global_load_dwordx2 v[132:133], v2, s[12:13] offset:432
	v_mul_u32_u24_e32 v1, 5, v16
	v_lshlrev_b32_e32 v3, 3, v4
	v_lshlrev_b32_e32 v1, 3, v1
	s_clause 0x5
	global_load_dwordx4 v[42:45], v3, s[12:13] offset:400
	global_load_dwordx4 v[64:67], v3, s[12:13] offset:416
	global_load_dwordx2 v[134:135], v3, s[12:13] offset:432
	global_load_dwordx4 v[68:71], v1, s[12:13] offset:400
	global_load_dwordx4 v[72:75], v1, s[12:13] offset:416
	global_load_dwordx2 v[136:137], v1, s[12:13] offset:432
	ds_read2_b64 v[76:79], v61 offset0:104 offset1:164
	ds_read2_b64 v[80:83], v9 offset0:80 offset1:140
	ds_read2_b64 v[84:87], v56 offset1:60
	ds_read2_b64 v[88:91], v60 offset0:56 offset1:116
	ds_read2_b64 v[92:95], v58 offset0:160 offset1:220
	;; [unrolled: 1-line block ×13, first 2 shown]
	s_waitcnt vmcnt(14) lgkmcnt(15)
	v_mul_f32_e32 v138, v19, v77
	v_mul_f32_e32 v139, v19, v76
	;; [unrolled: 1-line block ×4, first 2 shown]
	s_waitcnt lgkmcnt(14)
	v_mul_f32_e32 v141, v21, v81
	v_fmac_f32_e32 v138, v18, v76
	v_fma_f32 v139, v18, v77, -v139
	v_fmac_f32_e32 v140, v78, v18
	v_fma_f32 v142, v79, v18, -v19
	v_mul_f32_e32 v18, v21, v80
	v_mul_f32_e32 v143, v83, v21
	;; [unrolled: 1-line block ×3, first 2 shown]
	s_waitcnt vmcnt(13) lgkmcnt(12)
	v_mul_f32_e32 v144, v89, v23
	v_fmac_f32_e32 v141, v20, v80
	v_fma_f32 v80, v20, v81, -v18
	v_fmac_f32_e32 v143, v82, v20
	v_fma_f32 v81, v83, v20, -v19
	v_mul_f32_e32 v18, v88, v23
	v_mul_f32_e32 v82, v91, v23
	;; [unrolled: 1-line block ×3, first 2 shown]
	s_waitcnt lgkmcnt(11)
	v_mul_f32_e32 v83, v93, v25
	v_mul_f32_e32 v20, v92, v25
	;; [unrolled: 1-line block ×4, first 2 shown]
	v_fmac_f32_e32 v144, v88, v22
	v_fma_f32 v25, v89, v22, -v18
	v_fmac_f32_e32 v82, v90, v22
	v_fma_f32 v88, v91, v22, -v19
	;; [unrolled: 2-line block ×4, first 2 shown]
	ds_read2_b64 v[21:24], v8 offset0:120 offset1:180
	s_waitcnt vmcnt(11) lgkmcnt(9)
	v_mul_f32_e32 v18, v100, v27
	ds_read2_b64 v[76:79], v59 offset0:144 offset1:204
	v_mul_f32_e32 v91, v101, v27
	s_waitcnt lgkmcnt(9)
	v_mul_f32_e32 v19, v104, v29
	s_waitcnt vmcnt(8)
	v_mul_f32_e32 v93, v103, v31
	v_fma_f32 v94, v101, v26, -v18
	v_mul_f32_e32 v18, v102, v31
	v_mul_f32_e32 v92, v105, v29
	v_fmac_f32_e32 v91, v100, v26
	v_fma_f32 v95, v105, v28, -v19
	v_mul_f32_e32 v100, v107, v33
	v_mul_f32_e32 v19, v106, v33
	s_waitcnt lgkmcnt(8)
	v_mul_f32_e32 v101, v109, v35
	v_fmac_f32_e32 v93, v102, v30
	v_fma_f32 v102, v103, v30, -v18
	s_waitcnt lgkmcnt(7)
	v_mul_f32_e32 v103, v113, v37
	v_mul_f32_e32 v20, v112, v37
	v_fmac_f32_e32 v92, v104, v28
	v_mul_f32_e32 v18, v108, v35
	s_waitcnt vmcnt(7)
	v_mul_f32_e32 v104, v111, v39
	v_fmac_f32_e32 v100, v106, v32
	v_fma_f32 v105, v107, v32, -v19
	v_mul_f32_e32 v19, v110, v39
	v_mul_f32_e32 v106, v115, v41
	;; [unrolled: 1-line block ×7, first 2 shown]
	v_fmac_f32_e32 v101, v108, v34
	v_fmac_f32_e32 v103, v112, v36
	v_fma_f32 v108, v113, v36, -v20
	s_waitcnt lgkmcnt(6)
	v_mul_f32_e32 v30, v116, v55
	s_waitcnt vmcnt(3) lgkmcnt(1)
	v_mul_f32_e32 v36, v21, v135
	v_mul_f32_e32 v47, v117, v55
	v_fma_f32 v107, v109, v34, -v18
	v_mul_f32_e32 v109, v119, v133
	v_mul_f32_e32 v31, v118, v133
	v_fmac_f32_e32 v104, v110, v38
	v_fma_f32 v110, v111, v38, -v19
	v_mul_f32_e32 v32, v120, v43
	v_fmac_f32_e32 v106, v114, v40
	v_fma_f32 v114, v115, v40, -v26
	v_mul_f32_e32 v26, v128, v65
	v_mul_f32_e32 v133, v22, v135
	v_fmac_f32_e32 v27, v96, v46
	v_fma_f32 v28, v97, v46, -v28
	v_fmac_f32_e32 v35, v98, v46
	v_fma_f32 v38, v99, v46, -v29
	s_waitcnt vmcnt(0)
	v_mul_f32_e32 v20, v24, v137
	v_fma_f32 v46, v117, v54, -v30
	v_mul_f32_e32 v30, v23, v137
	v_fma_f32 v117, v22, v134, -v36
	v_add_f32_e32 v22, v141, v83
	v_mul_f32_e32 v112, v121, v43
	v_mul_f32_e32 v33, v124, v45
	s_waitcnt lgkmcnt(0)
	v_mul_f32_e32 v34, v76, v67
	v_mul_f32_e32 v135, v127, v71
	;; [unrolled: 1-line block ×3, first 2 shown]
	v_fma_f32 v71, v119, v132, -v31
	v_fma_f32 v97, v121, v42, -v32
	;; [unrolled: 1-line block ×3, first 2 shown]
	v_fmac_f32_e32 v20, v23, v136
	v_fma_f32 v121, v24, v136, -v30
	v_add_f32_e32 v23, v84, v141
	v_sub_f32_e32 v24, v80, v89
	v_add_f32_e32 v26, v80, v89
	v_fma_f32 v31, -0.5, v22, v84
	v_add_f32_e32 v30, v25, v28
	v_fmac_f32_e32 v47, v116, v54
	v_fma_f32 v98, v125, v44, -v33
	v_fma_f32 v116, v77, v66, -v34
	v_sub_f32_e32 v22, v141, v83
	v_fma_f32 v33, -0.5, v26, v85
	v_add_f32_e32 v32, v23, v83
	v_fmamk_f32 v34, v24, 0xbf5db3d7, v31
	v_fmac_f32_e32 v31, 0x3f5db3d7, v24
	v_add_f32_e32 v23, v144, v27
	v_add_f32_e32 v24, v139, v25
	v_fmac_f32_e32 v139, -0.5, v30
	v_sub_f32_e32 v26, v144, v27
	v_mul_f32_e32 v37, v122, v69
	v_fmamk_f32 v36, v22, 0x3f5db3d7, v33
	v_add_f32_e32 v30, v138, v144
	v_fmac_f32_e32 v138, -0.5, v23
	v_sub_f32_e32 v23, v25, v28
	v_fmac_f32_e32 v33, 0xbf5db3d7, v22
	v_fmamk_f32 v22, v26, 0x3f5db3d7, v139
	v_mul_f32_e32 v39, v130, v73
	v_fmac_f32_e32 v133, v21, v134
	v_fma_f32 v21, v123, v68, -v37
	v_fmac_f32_e32 v139, 0xbf5db3d7, v26
	v_fmamk_f32 v25, v23, 0xbf5db3d7, v138
	v_mul_f32_e32 v37, 0xbf5db3d7, v22
	v_mul_f32_e32 v40, v78, v75
	v_fma_f32 v119, v131, v72, -v39
	v_add_f32_e32 v30, v30, v27
	v_fmac_f32_e32 v138, 0x3f5db3d7, v23
	v_mul_f32_e32 v39, 0xbf5db3d7, v139
	v_mul_f32_e32 v41, 0.5, v22
	v_fmac_f32_e32 v37, 0.5, v25
	v_fmac_f32_e32 v109, v118, v132
	v_fmac_f32_e32 v112, v120, v42
	v_fma_f32 v118, v127, v70, -v29
	v_fma_f32 v120, v79, v74, -v40
	v_add_f32_e32 v29, v85, v80
	v_add_f32_e32 v40, v24, v28
	v_mul_f32_e32 v42, -0.5, v139
	v_fmac_f32_e32 v39, -0.5, v138
	v_add_f32_e32 v22, v32, v30
	v_fmac_f32_e32 v41, 0x3f5db3d7, v25
	v_add_f32_e32 v24, v34, v37
	v_sub_f32_e32 v28, v32, v30
	v_sub_f32_e32 v30, v34, v37
	v_add_f32_e32 v34, v143, v145
	v_add_f32_e32 v29, v29, v89
	v_fmac_f32_e32 v42, 0x3f5db3d7, v138
	v_add_f32_e32 v26, v31, v39
	v_add_f32_e32 v25, v36, v41
	v_sub_f32_e32 v32, v31, v39
	v_sub_f32_e32 v31, v36, v41
	v_add_f32_e32 v36, v86, v143
	v_fma_f32 v41, -0.5, v34, v86
	v_sub_f32_e32 v34, v81, v90
	v_add_f32_e32 v23, v29, v40
	v_add_f32_e32 v27, v33, v42
	v_sub_f32_e32 v29, v29, v40
	v_sub_f32_e32 v33, v33, v42
	v_add_f32_e32 v37, v81, v90
	v_add_f32_e32 v40, v36, v145
	;; [unrolled: 1-line block ×3, first 2 shown]
	v_fmamk_f32 v42, v34, 0xbf5db3d7, v41
	v_fmac_f32_e32 v41, 0x3f5db3d7, v34
	v_add_f32_e32 v34, v88, v38
	v_mul_f32_e32 v111, v125, v45
	v_fmac_f32_e32 v87, -0.5, v37
	v_sub_f32_e32 v37, v143, v145
	v_add_f32_e32 v43, v36, v90
	v_add_f32_e32 v36, v82, v35
	;; [unrolled: 1-line block ×3, first 2 shown]
	v_fmac_f32_e32 v142, -0.5, v34
	v_sub_f32_e32 v34, v82, v35
	v_fmac_f32_e32 v111, v124, v44
	v_fmamk_f32 v45, v37, 0x3f5db3d7, v87
	v_add_f32_e32 v44, v140, v82
	v_fmac_f32_e32 v140, -0.5, v36
	v_sub_f32_e32 v36, v88, v38
	v_fmac_f32_e32 v87, 0xbf5db3d7, v37
	v_fmamk_f32 v37, v34, 0x3f5db3d7, v142
	v_fmac_f32_e32 v142, 0xbf5db3d7, v34
	v_add_f32_e32 v44, v44, v35
	v_fmamk_f32 v35, v36, 0xbf5db3d7, v140
	v_mul_f32_e32 v113, v129, v65
	v_mul_f32_e32 v54, 0xbf5db3d7, v37
	v_fmac_f32_e32 v140, 0x3f5db3d7, v36
	v_mul_f32_e32 v55, 0xbf5db3d7, v142
	v_mul_f32_e32 v65, 0.5, v37
	v_mul_f32_e32 v115, v77, v67
	v_fmac_f32_e32 v54, 0.5, v35
	v_fmac_f32_e32 v113, v128, v64
	v_add_f32_e32 v64, v39, v38
	v_fmac_f32_e32 v55, -0.5, v140
	v_fmac_f32_e32 v65, 0x3f5db3d7, v35
	v_add_f32_e32 v36, v42, v54
	v_sub_f32_e32 v42, v42, v54
	v_add_f32_e32 v54, v92, v103
	v_fmac_f32_e32 v115, v76, v66
	v_mul_f32_e32 v66, -0.5, v142
	v_add_f32_e32 v34, v40, v44
	v_add_f32_e32 v38, v41, v55
	;; [unrolled: 1-line block ×4, first 2 shown]
	v_sub_f32_e32 v40, v40, v44
	v_sub_f32_e32 v44, v41, v55
	;; [unrolled: 1-line block ×4, first 2 shown]
	v_add_f32_e32 v55, v4, v92
	v_fma_f32 v65, -0.5, v54, v4
	v_sub_f32_e32 v4, v95, v108
	v_fmac_f32_e32 v66, 0x3f5db3d7, v140
	v_add_f32_e32 v64, v95, v108
	v_add_f32_e32 v54, v5, v95
	v_mul_f32_e32 v18, v123, v69
	v_fmamk_f32 v67, v4, 0xbf5db3d7, v65
	v_fmac_f32_e32 v65, 0x3f5db3d7, v4
	v_add_f32_e32 v4, v107, v46
	v_mul_f32_e32 v19, v131, v73
	v_fmac_f32_e32 v135, v126, v70
	v_add_f32_e32 v39, v87, v66
	v_sub_f32_e32 v45, v87, v66
	v_add_f32_e32 v66, v55, v103
	v_fma_f32 v69, -0.5, v64, v5
	v_sub_f32_e32 v5, v92, v103
	v_add_f32_e32 v70, v54, v108
	v_add_f32_e32 v54, v101, v47
	;; [unrolled: 1-line block ×3, first 2 shown]
	v_fmac_f32_e32 v94, -0.5, v4
	v_sub_f32_e32 v4, v101, v47
	v_fmac_f32_e32 v19, v130, v72
	v_fmamk_f32 v72, v5, 0x3f5db3d7, v69
	v_add_f32_e32 v64, v91, v101
	v_fmac_f32_e32 v91, -0.5, v54
	v_sub_f32_e32 v54, v107, v46
	v_fmac_f32_e32 v69, 0xbf5db3d7, v5
	v_fmamk_f32 v5, v4, 0x3f5db3d7, v94
	v_fmac_f32_e32 v94, 0xbf5db3d7, v4
	v_mul_f32_e32 v96, v79, v75
	v_fmac_f32_e32 v18, v122, v68
	v_add_f32_e32 v64, v64, v47
	v_fmamk_f32 v47, v54, 0xbf5db3d7, v91
	v_fmac_f32_e32 v91, 0x3f5db3d7, v54
	v_mul_f32_e32 v68, 0xbf5db3d7, v5
	v_mul_f32_e32 v73, 0xbf5db3d7, v94
	v_fmac_f32_e32 v96, v78, v74
	v_add_f32_e32 v74, v55, v46
	v_mul_f32_e32 v75, 0.5, v5
	v_fmac_f32_e32 v68, 0.5, v47
	v_fmac_f32_e32 v73, -0.5, v91
	v_mul_f32_e32 v76, -0.5, v94
	v_add_f32_e32 v4, v66, v64
	v_fmac_f32_e32 v75, 0x3f5db3d7, v47
	v_add_f32_e32 v46, v67, v68
	v_add_f32_e32 v54, v65, v73
	;; [unrolled: 1-line block ×3, first 2 shown]
	v_sub_f32_e32 v64, v66, v64
	v_sub_f32_e32 v66, v67, v68
	;; [unrolled: 1-line block ×4, first 2 shown]
	v_add_f32_e32 v70, v100, v106
	v_fmac_f32_e32 v76, 0x3f5db3d7, v91
	v_add_f32_e32 v47, v72, v75
	v_sub_f32_e32 v67, v72, v75
	v_add_f32_e32 v72, v6, v100
	v_fma_f32 v6, -0.5, v70, v6
	v_sub_f32_e32 v70, v105, v114
	v_add_f32_e32 v55, v69, v76
	v_sub_f32_e32 v69, v69, v76
	v_add_f32_e32 v73, v105, v114
	v_add_f32_e32 v76, v72, v106
	;; [unrolled: 1-line block ×3, first 2 shown]
	v_fmamk_f32 v77, v70, 0xbf5db3d7, v6
	v_fmac_f32_e32 v6, 0x3f5db3d7, v70
	v_add_f32_e32 v70, v110, v71
	v_fmac_f32_e32 v7, -0.5, v73
	v_sub_f32_e32 v73, v100, v106
	v_add_f32_e32 v79, v72, v114
	v_add_f32_e32 v72, v104, v109
	;; [unrolled: 1-line block ×3, first 2 shown]
	v_fmac_f32_e32 v102, -0.5, v70
	v_sub_f32_e32 v70, v104, v109
	v_fmamk_f32 v80, v73, 0x3f5db3d7, v7
	v_add_f32_e32 v75, v93, v104
	v_fmac_f32_e32 v93, -0.5, v72
	v_sub_f32_e32 v72, v110, v71
	v_fmac_f32_e32 v7, 0xbf5db3d7, v73
	v_fmamk_f32 v73, v70, 0x3f5db3d7, v102
	v_fmac_f32_e32 v102, 0xbf5db3d7, v70
	v_add_f32_e32 v78, v75, v109
	v_fmamk_f32 v75, v72, 0xbf5db3d7, v93
	v_fmac_f32_e32 v93, 0x3f5db3d7, v72
	v_mul_f32_e32 v81, 0xbf5db3d7, v73
	v_mul_f32_e32 v84, 0.5, v73
	v_mul_f32_e32 v85, -0.5, v102
	v_mul_f32_e32 v82, 0xbf5db3d7, v102
	v_add_f32_e32 v83, v74, v71
	v_fmac_f32_e32 v81, 0.5, v75
	v_add_f32_e32 v70, v76, v78
	v_fmac_f32_e32 v84, 0x3f5db3d7, v75
	v_fmac_f32_e32 v85, 0x3f5db3d7, v93
	v_sub_f32_e32 v76, v76, v78
	v_add_f32_e32 v72, v77, v81
	v_sub_f32_e32 v78, v77, v81
	v_add_f32_e32 v81, v111, v115
	v_fmac_f32_e32 v82, -0.5, v93
	v_add_f32_e32 v71, v79, v83
	v_add_f32_e32 v73, v80, v84
	;; [unrolled: 1-line block ×3, first 2 shown]
	v_sub_f32_e32 v77, v79, v83
	v_sub_f32_e32 v79, v80, v84
	v_add_f32_e32 v80, v0, v111
	v_sub_f32_e32 v7, v7, v85
	v_fma_f32 v85, -0.5, v81, v0
	v_sub_f32_e32 v0, v98, v116
	v_add_f32_e32 v74, v6, v82
	v_sub_f32_e32 v6, v6, v82
	v_add_f32_e32 v82, v98, v116
	v_add_f32_e32 v84, v80, v115
	;; [unrolled: 1-line block ×3, first 2 shown]
	v_fmamk_f32 v86, v0, 0xbf5db3d7, v85
	v_fmac_f32_e32 v85, 0x3f5db3d7, v0
	v_add_f32_e32 v0, v99, v117
	v_fma_f32 v89, -0.5, v82, v1
	v_sub_f32_e32 v1, v111, v115
	v_add_f32_e32 v87, v80, v116
	v_add_f32_e32 v80, v113, v133
	;; [unrolled: 1-line block ×3, first 2 shown]
	v_fmac_f32_e32 v97, -0.5, v0
	v_sub_f32_e32 v0, v113, v133
	v_fmamk_f32 v90, v1, 0x3f5db3d7, v89
	v_add_f32_e32 v82, v112, v113
	v_fmac_f32_e32 v112, -0.5, v80
	v_sub_f32_e32 v80, v99, v117
	v_fmac_f32_e32 v89, 0xbf5db3d7, v1
	v_fmamk_f32 v1, v0, 0x3f5db3d7, v97
	v_fmac_f32_e32 v97, 0xbf5db3d7, v0
	v_add_f32_e32 v88, v82, v133
	v_fmamk_f32 v82, v80, 0xbf5db3d7, v112
	v_fmac_f32_e32 v112, 0x3f5db3d7, v80
	v_mul_f32_e32 v91, 0xbf5db3d7, v1
	v_mul_f32_e32 v92, 0xbf5db3d7, v97
	v_mul_f32_e32 v94, 0.5, v1
	v_add_f32_e32 v93, v81, v117
	v_mul_f32_e32 v95, -0.5, v97
	v_fmac_f32_e32 v91, 0.5, v82
	v_fmac_f32_e32 v92, -0.5, v112
	v_fmac_f32_e32 v94, 0x3f5db3d7, v82
	v_add_f32_e32 v0, v84, v88
	v_fmac_f32_e32 v95, 0x3f5db3d7, v112
	v_add_f32_e32 v80, v86, v91
	v_sub_f32_e32 v86, v86, v91
	v_add_f32_e32 v91, v135, v96
	v_add_f32_e32 v82, v85, v92
	;; [unrolled: 1-line block ×4, first 2 shown]
	v_sub_f32_e32 v84, v84, v88
	v_sub_f32_e32 v88, v85, v92
	v_sub_f32_e32 v85, v87, v93
	v_sub_f32_e32 v87, v90, v94
	v_add_f32_e32 v90, v2, v135
	v_fma_f32 v2, -0.5, v91, v2
	v_sub_f32_e32 v91, v118, v120
	v_add_f32_e32 v83, v89, v95
	v_sub_f32_e32 v89, v89, v95
	v_add_f32_e32 v92, v118, v120
	v_add_f32_e32 v94, v90, v96
	;; [unrolled: 1-line block ×3, first 2 shown]
	v_fmamk_f32 v95, v91, 0xbf5db3d7, v2
	v_fmac_f32_e32 v2, 0x3f5db3d7, v91
	v_add_f32_e32 v91, v119, v121
	v_fmac_f32_e32 v3, -0.5, v92
	v_sub_f32_e32 v92, v135, v96
	v_add_f32_e32 v97, v90, v120
	v_add_f32_e32 v90, v19, v20
	;; [unrolled: 1-line block ×3, first 2 shown]
	v_fmac_f32_e32 v21, -0.5, v91
	v_sub_f32_e32 v91, v19, v20
	v_fmamk_f32 v98, v92, 0x3f5db3d7, v3
	v_add_f32_e32 v19, v18, v19
	v_fmac_f32_e32 v18, -0.5, v90
	v_sub_f32_e32 v90, v119, v121
	v_fmac_f32_e32 v3, 0xbf5db3d7, v92
	v_fmamk_f32 v92, v91, 0x3f5db3d7, v21
	v_fmac_f32_e32 v21, 0xbf5db3d7, v91
	v_add_f32_e32 v96, v19, v20
	v_fmamk_f32 v20, v90, 0xbf5db3d7, v18
	v_fmac_f32_e32 v18, 0x3f5db3d7, v90
	v_mul_f32_e32 v100, 0xbf5db3d7, v21
	v_mul_f32_e32 v21, -0.5, v21
	s_barrier
	buffer_gl0_inv
	ds_write2_b64 v56, v[22:23], v[24:25] offset1:60
	v_fmac_f32_e32 v100, -0.5, v18
	v_fmac_f32_e32 v21, 0x3f5db3d7, v18
	v_add_nc_u32_e32 v18, 0x1400, v15
	v_add_nc_u32_e32 v15, 0x1800, v15
	ds_write2_b64 v56, v[26:27], v[28:29] offset0:120 offset1:180
	ds_write2_b64 v62, v[30:31], v[32:33] offset0:112 offset1:172
	;; [unrolled: 1-line block ×7, first 2 shown]
	v_lshl_add_u32 v4, v17, 3, 0
	v_add_f32_e32 v101, v93, v121
	v_add_f32_e32 v93, v3, v21
	v_sub_f32_e32 v3, v3, v21
	v_add_nc_u32_e32 v21, 0x2000, v14
	v_mul_f32_e32 v99, 0xbf5db3d7, v92
	v_mul_f32_e32 v102, 0.5, v92
	ds_write2_b64 v15, v[66:67], v[68:69] offset0:192 offset1:252
	ds_write2_b64 v21, v[70:71], v[72:73] offset0:56 offset1:116
	v_add_nc_u32_e32 v15, 0x2800, v4
	v_add_nc_u32_e32 v5, 0x2800, v14
	;; [unrolled: 1-line block ×3, first 2 shown]
	v_fmac_f32_e32 v99, 0.5, v20
	v_fmac_f32_e32 v102, 0x3f5db3d7, v20
	v_lshl_add_u32 v14, v16, 3, 0
	ds_write2_b64 v21, v[74:75], v[76:77] offset0:176 offset1:236
	ds_write2_b64 v5, v[78:79], v[6:7] offset0:40 offset1:100
	;; [unrolled: 1-line block ×4, first 2 shown]
	v_mul_u32_u24_e32 v1, 5, v11
	v_add_f32_e32 v19, v94, v96
	v_add_f32_e32 v90, v95, v99
	v_add_f32_e32 v92, v2, v100
	v_add_f32_e32 v20, v97, v101
	v_sub_f32_e32 v94, v94, v96
	v_sub_f32_e32 v96, v95, v99
	;; [unrolled: 1-line block ×5, first 2 shown]
	v_add_nc_u32_e32 v0, 0x3c00, v14
	v_add_f32_e32 v91, v98, v102
	v_add_nc_u32_e32 v5, 0x3800, v14
	v_lshlrev_b32_e32 v39, 3, v1
	ds_write2_b64 v4, v[86:87], v[88:89] offset0:144 offset1:204
	ds_write2_b64 v5, v[19:20], v[90:91] offset0:8 offset1:68
	ds_write2_b64 v5, v[92:93], v[94:95] offset0:128 offset1:188
	ds_write2_b64 v0, v[96:97], v[2:3] offset0:120 offset1:180
	v_add_co_u32 v0, s0, 0x800, v12
	v_add_co_ci_u32_e64 v1, s0, 0, v13, s0
	v_add_co_u32 v33, s0, s12, v39
	v_add_co_ci_u32_e64 v34, null, s13, 0, s0
	s_waitcnt lgkmcnt(0)
	v_add_co_u32 v4, s0, 0x800, v33
	s_barrier
	buffer_gl0_inv
	global_load_dwordx4 v[0:3], v[0:1], off offset:752
	v_add_co_ci_u32_e64 v5, s0, 0, v34, s0
	v_add_co_u32 v19, s0, 0xaf0, v12
	v_add_co_ci_u32_e64 v20, s0, 0, v13, s0
	global_load_dwordx4 v[4:7], v[4:5], off offset:752
	v_add_co_u32 v21, s0, 0xaf0, v33
	global_load_dwordx4 v[11:14], v[19:20], off offset:16
	v_add_co_ci_u32_e64 v22, s0, 0, v34, s0
	s_clause 0x1
	global_load_dwordx4 v[15:18], v[21:22], off offset:16
	global_load_dwordx2 v[54:55], v[19:20], off offset:32
	v_add_co_u32 v19, s0, 0x1000, v33
	v_add_co_ci_u32_e64 v20, s0, 0, v34, s0
	v_add_co_u32 v23, s0, 0x1800, v33
	v_add_co_ci_u32_e64 v24, s0, 0, v34, s0
	s_clause 0x1
	global_load_dwordx2 v[112:113], v[21:22], off offset:32
	global_load_dwordx4 v[19:22], v[19:20], off offset:1104
	v_add_co_u32 v31, s0, 0x1450, v33
	v_add_nc_u32_e32 v37, 0x1c20, v39
	v_add_co_ci_u32_e64 v32, s0, 0, v34, s0
	global_load_dwordx4 v[23:26], v[23:24], off offset:1456
	v_add_co_u32 v35, s0, 0x1db0, v33
	global_load_dwordx4 v[27:30], v[31:32], off offset:16
	v_add_co_ci_u32_e64 v36, s0, 0, v34, s0
	v_add_co_u32 v37, s0, s12, v37
	v_add_co_ci_u32_e64 v38, null, s13, 0, s0
	s_clause 0x2
	global_load_dwordx2 v[114:115], v[31:32], off offset:32
	global_load_dwordx4 v[31:34], v[35:36], off offset:16
	global_load_dwordx2 v[116:117], v[35:36], off offset:32
	v_add_co_u32 v35, s0, 0x800, v37
	v_add_co_ci_u32_e64 v36, s0, 0, v38, s0
	v_add_co_u32 v43, s0, 0xaf0, v37
	v_add_nc_u32_e32 v45, 0x2580, v39
	v_add_co_ci_u32_e64 v44, s0, 0, v38, s0
	global_load_dwordx4 v[35:38], v[35:36], off offset:752
	v_add_co_u32 v47, s0, s12, v45
	global_load_dwordx4 v[39:42], v[43:44], off offset:16
	v_add_co_ci_u32_e64 v64, null, s13, 0, s0
	v_add_co_u32 v45, s0, 0x800, v47
	v_add_co_ci_u32_e64 v46, s0, 0, v64, s0
	s_clause 0x1
	global_load_dwordx2 v[118:119], v[43:44], off offset:32
	global_load_dwordx4 v[43:46], v[45:46], off offset:752
	v_add_co_u32 v68, s0, 0xaf0, v47
	v_add_co_ci_u32_e64 v69, s0, 0, v64, s0
	s_clause 0x1
	global_load_dwordx4 v[64:67], v[68:69], off offset:16
	global_load_dwordx2 v[120:121], v[68:69], off offset:32
	ds_read2_b64 v[68:71], v61 offset0:104 offset1:164
	ds_read2_b64 v[72:75], v9 offset0:80 offset1:140
	ds_read2_b64 v[76:79], v56 offset1:60
	ds_read2_b64 v[80:83], v60 offset0:56 offset1:116
	ds_read2_b64 v[84:87], v58 offset0:160 offset1:220
	;; [unrolled: 1-line block ×8, first 2 shown]
	s_waitcnt vmcnt(17) lgkmcnt(10)
	v_mul_f32_e32 v47, v1, v69
	v_mul_f32_e32 v1, v1, v68
	s_waitcnt lgkmcnt(9)
	v_mul_f32_e32 v122, v3, v73
	v_mul_f32_e32 v3, v3, v72
	v_fmac_f32_e32 v47, v0, v68
	v_fma_f32 v124, v0, v69, -v1
	s_waitcnt vmcnt(16)
	v_mul_f32_e32 v123, v71, v5
	v_mul_f32_e32 v0, v70, v5
	v_fmac_f32_e32 v122, v2, v72
	v_fma_f32 v72, v2, v73, -v3
	v_mul_f32_e32 v73, v75, v7
	v_fmac_f32_e32 v123, v70, v4
	v_mul_f32_e32 v1, v74, v7
	v_fma_f32 v125, v71, v4, -v0
	s_waitcnt vmcnt(15) lgkmcnt(7)
	v_mul_f32_e32 v126, v81, v12
	v_mul_f32_e32 v4, v80, v12
	ds_read2_b64 v[68:71], v63 offset0:128 offset1:188
	v_fmac_f32_e32 v73, v74, v6
	v_fma_f32 v74, v75, v6, -v1
	s_waitcnt lgkmcnt(7)
	v_mul_f32_e32 v75, v85, v14
	v_fmac_f32_e32 v126, v80, v11
	v_mul_f32_e32 v5, v84, v14
	s_waitcnt vmcnt(14)
	v_mul_f32_e32 v80, v83, v16
	v_fma_f32 v81, v81, v11, -v4
	v_mul_f32_e32 v4, v82, v16
	v_fmac_f32_e32 v75, v84, v13
	v_fma_f32 v84, v85, v13, -v5
	v_fmac_f32_e32 v80, v82, v15
	v_mul_f32_e32 v82, v87, v18
	v_mul_f32_e32 v11, v86, v18
	v_fma_f32 v83, v83, v15, -v4
	ds_read2_b64 v[4:7], v49 offset0:88 offset1:148
	s_waitcnt vmcnt(13) lgkmcnt(7)
	v_mul_f32_e32 v85, v89, v55
	v_mul_f32_e32 v15, v88, v55
	s_waitcnt vmcnt(12)
	v_mul_f32_e32 v55, v91, v113
	v_fmac_f32_e32 v82, v86, v17
	v_fma_f32 v86, v87, v17, -v11
	ds_read2_b64 v[11:14], v57 offset0:192 offset1:252
	v_mul_f32_e32 v16, v90, v113
	v_fmac_f32_e32 v85, v88, v54
	s_waitcnt vmcnt(11) lgkmcnt(6)
	v_mul_f32_e32 v87, v97, v20
	v_fma_f32 v54, v89, v54, -v15
	v_fmac_f32_e32 v55, v90, v112
	v_mul_f32_e32 v20, v96, v20
	s_waitcnt lgkmcnt(5)
	v_mul_f32_e32 v89, v101, v22
	v_mul_f32_e32 v22, v100, v22
	s_waitcnt vmcnt(10)
	v_mul_f32_e32 v90, v99, v24
	v_mul_f32_e32 v24, v98, v24
	v_fma_f32 v88, v91, v112, -v16
	v_fmac_f32_e32 v87, v96, v19
	v_fma_f32 v91, v97, v19, -v20
	v_fmac_f32_e32 v89, v100, v21
	;; [unrolled: 2-line block ×3, first 2 shown]
	v_fma_f32 v97, v99, v23, -v24
	v_mul_f32_e32 v98, v103, v26
	v_mul_f32_e32 v23, v102, v26
	ds_read2_b64 v[19:22], v59 offset0:144 offset1:204
	s_waitcnt vmcnt(9) lgkmcnt(5)
	v_mul_f32_e32 v99, v105, v28
	v_mul_f32_e32 v28, v104, v28
	ds_read2_b64 v[15:18], v58 offset0:40 offset1:100
	v_fmac_f32_e32 v98, v102, v25
	v_fma_f32 v100, v103, v25, -v23
	s_waitcnt lgkmcnt(5)
	v_mul_f32_e32 v101, v109, v30
	v_fmac_f32_e32 v99, v104, v27
	v_mul_f32_e32 v30, v108, v30
	v_fma_f32 v102, v105, v27, -v28
	s_waitcnt vmcnt(8) lgkmcnt(4)
	v_mul_f32_e32 v103, v69, v115
	v_mul_f32_e32 v27, v68, v115
	ds_read2_b64 v[23:26], v8 offset0:120 offset1:180
	v_fma_f32 v104, v109, v29, -v30
	s_waitcnt vmcnt(5) lgkmcnt(4)
	v_mul_f32_e32 v109, v5, v36
	v_fmac_f32_e32 v103, v68, v114
	v_fma_f32 v68, v69, v114, -v27
	v_mul_f32_e32 v27, v110, v34
	v_fmac_f32_e32 v101, v108, v29
	v_fmac_f32_e32 v109, v4, v35
	v_mul_f32_e32 v105, v107, v32
	v_mul_f32_e32 v28, v106, v32
	v_fma_f32 v108, v111, v33, -v27
	v_mul_f32_e32 v27, v4, v36
	s_waitcnt lgkmcnt(3)
	v_mul_f32_e32 v4, v11, v38
	v_mul_f32_e32 v69, v111, v34
	v_fmac_f32_e32 v105, v106, v31
	v_fma_f32 v106, v107, v31, -v28
	v_mul_f32_e32 v107, v71, v117
	v_fma_f32 v113, v12, v37, -v4
	s_waitcnt vmcnt(4) lgkmcnt(2)
	v_mul_f32_e32 v4, v19, v42
	v_fmac_f32_e32 v69, v110, v33
	v_mul_f32_e32 v28, v70, v117
	v_mul_f32_e32 v110, v12, v38
	v_fma_f32 v111, v5, v35, -v27
	s_waitcnt lgkmcnt(1)
	v_mul_f32_e32 v5, v15, v40
	v_fma_f32 v117, v20, v41, -v4
	s_waitcnt vmcnt(2)
	v_mul_f32_e32 v4, v7, v44
	v_fmac_f32_e32 v107, v70, v116
	v_fma_f32 v70, v71, v116, -v28
	v_fmac_f32_e32 v110, v11, v37
	v_fma_f32 v115, v16, v39, -v5
	s_waitcnt lgkmcnt(0)
	v_mul_f32_e32 v116, v24, v119
	v_mul_f32_e32 v5, v23, v119
	;; [unrolled: 1-line block ×3, first 2 shown]
	v_fmac_f32_e32 v4, v6, v43
	v_mul_f32_e32 v6, v13, v46
	v_fmac_f32_e32 v116, v23, v118
	v_fma_f32 v118, v24, v118, -v5
	v_fma_f32 v5, v7, v43, -v11
	s_waitcnt vmcnt(1)
	v_mul_f32_e32 v7, v17, v65
	v_fma_f32 v128, v14, v45, -v6
	v_mul_f32_e32 v6, v21, v67
	s_waitcnt vmcnt(0)
	v_mul_f32_e32 v131, v26, v121
	v_mul_f32_e32 v112, v16, v40
	v_fma_f32 v130, v18, v64, -v7
	v_mul_f32_e32 v7, v25, v121
	v_fma_f32 v121, v22, v66, -v6
	v_add_f32_e32 v6, v122, v75
	v_mul_f32_e32 v127, v18, v65
	v_add_f32_e32 v11, v76, v122
	v_fmac_f32_e32 v112, v15, v39
	v_fmac_f32_e32 v131, v25, v120
	v_fma_f32 v16, -0.5, v6, v76
	v_sub_f32_e32 v6, v72, v84
	v_fmac_f32_e32 v127, v17, v64
	v_fma_f32 v120, v26, v120, -v7
	v_add_f32_e32 v7, v72, v84
	v_add_f32_e32 v15, v11, v75
	;; [unrolled: 1-line block ×3, first 2 shown]
	v_fmamk_f32 v17, v6, 0xbf5db3d7, v16
	v_fmac_f32_e32 v16, 0x3f5db3d7, v6
	v_add_f32_e32 v6, v81, v54
	v_mul_f32_e32 v114, v20, v42
	v_mul_f32_e32 v119, v14, v46
	;; [unrolled: 1-line block ×3, first 2 shown]
	v_fma_f32 v20, -0.5, v7, v77
	v_sub_f32_e32 v7, v122, v75
	v_add_f32_e32 v18, v11, v84
	v_add_f32_e32 v11, v126, v85
	;; [unrolled: 1-line block ×3, first 2 shown]
	v_fmac_f32_e32 v124, -0.5, v6
	v_sub_f32_e32 v6, v126, v85
	v_fmac_f32_e32 v119, v13, v45
	v_fmac_f32_e32 v129, v21, v66
	v_fmamk_f32 v21, v7, 0x3f5db3d7, v20
	v_add_f32_e32 v13, v47, v126
	v_fmac_f32_e32 v47, -0.5, v11
	v_sub_f32_e32 v11, v81, v54
	v_fmac_f32_e32 v20, 0xbf5db3d7, v7
	v_fmamk_f32 v7, v6, 0x3f5db3d7, v124
	v_fmac_f32_e32 v114, v19, v41
	v_fmac_f32_e32 v124, 0xbf5db3d7, v6
	v_add_f32_e32 v19, v13, v85
	v_fmamk_f32 v13, v11, 0xbf5db3d7, v47
	v_mul_f32_e32 v22, 0xbf5db3d7, v7
	v_fmac_f32_e32 v47, 0x3f5db3d7, v11
	v_mul_f32_e32 v23, 0xbf5db3d7, v124
	v_mul_f32_e32 v25, 0.5, v7
	v_add_f32_e32 v24, v12, v54
	v_fmac_f32_e32 v22, 0.5, v13
	v_add_f32_e32 v6, v15, v19
	v_fmac_f32_e32 v23, -0.5, v47
	v_fmac_f32_e32 v25, 0x3f5db3d7, v13
	v_add_f32_e32 v7, v18, v24
	v_add_f32_e32 v11, v17, v22
	v_sub_f32_e32 v17, v17, v22
	v_add_f32_e32 v22, v73, v82
	v_add_f32_e32 v13, v16, v23
	;; [unrolled: 1-line block ×3, first 2 shown]
	v_sub_f32_e32 v15, v15, v19
	v_sub_f32_e32 v19, v16, v23
	;; [unrolled: 1-line block ×4, first 2 shown]
	v_add_f32_e32 v21, v78, v73
	v_fma_f32 v28, -0.5, v22, v78
	v_sub_f32_e32 v22, v74, v86
	v_add_f32_e32 v23, v74, v86
	v_add_f32_e32 v24, v125, v83
	;; [unrolled: 1-line block ×4, first 2 shown]
	v_fmamk_f32 v29, v22, 0xbf5db3d7, v28
	v_fmac_f32_e32 v28, 0x3f5db3d7, v22
	v_add_f32_e32 v22, v83, v88
	v_fmac_f32_e32 v79, -0.5, v23
	v_sub_f32_e32 v23, v73, v82
	v_add_f32_e32 v30, v21, v86
	v_add_f32_e32 v21, v80, v55
	v_fmac_f32_e32 v125, -0.5, v22
	v_sub_f32_e32 v22, v80, v55
	v_fmamk_f32 v32, v23, 0x3f5db3d7, v79
	v_add_f32_e32 v25, v123, v80
	v_fmac_f32_e32 v123, -0.5, v21
	v_sub_f32_e32 v21, v83, v88
	v_fmac_f32_e32 v79, 0xbf5db3d7, v23
	v_fmamk_f32 v23, v22, 0x3f5db3d7, v125
	v_fmac_f32_e32 v125, 0xbf5db3d7, v22
	v_add_f32_e32 v31, v25, v55
	v_fmamk_f32 v22, v21, 0xbf5db3d7, v123
	v_fmac_f32_e32 v123, 0x3f5db3d7, v21
	v_mul_f32_e32 v33, 0xbf5db3d7, v23
	v_mul_f32_e32 v34, 0xbf5db3d7, v125
	v_mul_f32_e32 v36, 0.5, v23
	v_add_f32_e32 v35, v24, v88
	v_add_f32_e32 v21, v27, v31
	v_fmac_f32_e32 v33, 0.5, v22
	v_fmac_f32_e32 v34, -0.5, v123
	v_sub_f32_e32 v27, v27, v31
	v_mul_f32_e32 v26, -0.5, v124
	v_mul_f32_e32 v37, -0.5, v125
	v_add_f32_e32 v23, v29, v33
	v_sub_f32_e32 v29, v29, v33
	v_add_f32_e32 v33, v89, v101
	v_add_f32_e32 v25, v28, v34
	v_sub_f32_e32 v31, v28, v34
	v_add_f32_e32 v34, v92, v89
	v_fmac_f32_e32 v36, 0x3f5db3d7, v22
	v_fma_f32 v40, -0.5, v33, v92
	v_sub_f32_e32 v33, v96, v104
	v_add_f32_e32 v22, v30, v35
	v_sub_f32_e32 v28, v30, v35
	v_add_f32_e32 v35, v96, v104
	v_add_f32_e32 v39, v34, v101
	;; [unrolled: 1-line block ×3, first 2 shown]
	v_fmamk_f32 v41, v33, 0xbf5db3d7, v40
	v_fmac_f32_e32 v40, 0x3f5db3d7, v33
	v_add_f32_e32 v33, v102, v68
	v_fmac_f32_e32 v26, 0x3f5db3d7, v47
	v_fmac_f32_e32 v37, 0x3f5db3d7, v123
	v_add_f32_e32 v24, v32, v36
	v_sub_f32_e32 v30, v32, v36
	v_fma_f32 v44, -0.5, v35, v93
	v_sub_f32_e32 v35, v89, v101
	v_add_f32_e32 v42, v34, v104
	v_add_f32_e32 v34, v99, v103
	;; [unrolled: 1-line block ×3, first 2 shown]
	v_fmac_f32_e32 v91, -0.5, v33
	v_sub_f32_e32 v33, v99, v103
	v_add_f32_e32 v14, v20, v26
	v_sub_f32_e32 v20, v20, v26
	v_add_f32_e32 v26, v79, v37
	v_sub_f32_e32 v32, v79, v37
	v_fmamk_f32 v45, v35, 0x3f5db3d7, v44
	v_add_f32_e32 v37, v87, v99
	v_fmac_f32_e32 v87, -0.5, v34
	v_sub_f32_e32 v34, v102, v68
	v_fmac_f32_e32 v44, 0xbf5db3d7, v35
	v_fmamk_f32 v35, v33, 0x3f5db3d7, v91
	v_fmac_f32_e32 v91, 0xbf5db3d7, v33
	v_add_f32_e32 v43, v37, v103
	v_fmamk_f32 v37, v34, 0xbf5db3d7, v87
	v_fmac_f32_e32 v87, 0x3f5db3d7, v34
	v_mul_f32_e32 v46, 0xbf5db3d7, v35
	v_mul_f32_e32 v47, 0xbf5db3d7, v91
	v_mul_f32_e32 v55, 0.5, v35
	v_add_f32_e32 v54, v36, v68
	v_add_f32_e32 v33, v39, v43
	v_fmac_f32_e32 v46, 0.5, v37
	v_fmac_f32_e32 v47, -0.5, v87
	v_fmac_f32_e32 v55, 0x3f5db3d7, v37
	v_add_f32_e32 v34, v42, v54
	v_sub_f32_e32 v39, v39, v43
	v_add_f32_e32 v35, v41, v46
	v_sub_f32_e32 v41, v41, v46
	v_add_f32_e32 v46, v98, v69
	v_add_f32_e32 v37, v40, v47
	;; [unrolled: 1-line block ×3, first 2 shown]
	v_sub_f32_e32 v43, v40, v47
	v_sub_f32_e32 v40, v42, v54
	;; [unrolled: 1-line block ×3, first 2 shown]
	v_add_f32_e32 v45, v94, v98
	v_fma_f32 v67, -0.5, v46, v94
	v_sub_f32_e32 v46, v100, v108
	v_add_f32_e32 v47, v100, v108
	ds_read2_b64 v[0:3], v62 offset0:112 offset1:172
	v_add_f32_e32 v66, v45, v69
	v_add_f32_e32 v45, v95, v100
	v_fmamk_f32 v68, v46, 0xbf5db3d7, v67
	v_fmac_f32_e32 v67, 0x3f5db3d7, v46
	v_add_f32_e32 v46, v106, v70
	v_fmac_f32_e32 v95, -0.5, v47
	v_sub_f32_e32 v47, v98, v69
	v_add_f32_e32 v69, v45, v108
	v_add_f32_e32 v45, v105, v107
	;; [unrolled: 1-line block ×3, first 2 shown]
	v_fmac_f32_e32 v97, -0.5, v46
	v_sub_f32_e32 v46, v105, v107
	v_fmamk_f32 v71, v47, 0x3f5db3d7, v95
	v_add_f32_e32 v55, v90, v105
	v_fmac_f32_e32 v90, -0.5, v45
	v_sub_f32_e32 v45, v106, v70
	v_fmac_f32_e32 v95, 0xbf5db3d7, v47
	v_fmamk_f32 v47, v46, 0x3f5db3d7, v97
	v_fmac_f32_e32 v97, 0xbf5db3d7, v46
	v_mul_f32_e32 v64, -0.5, v91
	v_add_f32_e32 v72, v55, v107
	v_fmamk_f32 v46, v45, 0xbf5db3d7, v90
	v_fmac_f32_e32 v90, 0x3f5db3d7, v45
	v_mul_f32_e32 v73, 0xbf5db3d7, v47
	v_mul_f32_e32 v74, 0xbf5db3d7, v97
	v_mul_f32_e32 v47, 0.5, v47
	v_fmac_f32_e32 v64, 0x3f5db3d7, v87
	v_add_f32_e32 v75, v54, v70
	v_add_f32_e32 v45, v66, v72
	v_fmac_f32_e32 v74, -0.5, v90
	v_fmac_f32_e32 v47, 0x3f5db3d7, v46
	v_sub_f32_e32 v66, v66, v72
	v_add_f32_e32 v72, v110, v114
	v_add_f32_e32 v38, v44, v64
	v_sub_f32_e32 v44, v44, v64
	v_fmac_f32_e32 v73, 0.5, v46
	v_add_f32_e32 v64, v67, v74
	v_add_f32_e32 v46, v69, v75
	;; [unrolled: 1-line block ×3, first 2 shown]
	v_sub_f32_e32 v70, v67, v74
	v_sub_f32_e32 v67, v69, v75
	;; [unrolled: 1-line block ×3, first 2 shown]
	s_waitcnt lgkmcnt(0)
	v_add_f32_e32 v47, v0, v110
	v_fma_f32 v77, -0.5, v72, v0
	v_sub_f32_e32 v0, v113, v117
	v_add_f32_e32 v54, v68, v73
	v_sub_f32_e32 v68, v68, v73
	v_add_f32_e32 v73, v113, v117
	v_add_f32_e32 v72, v1, v113
	v_fmamk_f32 v78, v0, 0xbf5db3d7, v77
	v_fmac_f32_e32 v77, 0x3f5db3d7, v0
	v_add_f32_e32 v0, v115, v118
	v_mul_f32_e32 v76, -0.5, v97
	v_fma_f32 v81, -0.5, v73, v1
	v_sub_f32_e32 v1, v110, v114
	v_add_f32_e32 v79, v72, v117
	v_add_f32_e32 v72, v112, v116
	;; [unrolled: 1-line block ×3, first 2 shown]
	v_fmac_f32_e32 v111, -0.5, v0
	v_sub_f32_e32 v0, v112, v116
	v_fmac_f32_e32 v76, 0x3f5db3d7, v90
	v_fmamk_f32 v82, v1, 0x3f5db3d7, v81
	v_add_f32_e32 v74, v109, v112
	v_fmac_f32_e32 v109, -0.5, v72
	v_sub_f32_e32 v72, v115, v118
	v_fmac_f32_e32 v81, 0xbf5db3d7, v1
	v_fmamk_f32 v1, v0, 0x3f5db3d7, v111
	v_fmac_f32_e32 v111, 0xbf5db3d7, v0
	v_add_f32_e32 v65, v95, v76
	v_sub_f32_e32 v71, v95, v76
	v_add_f32_e32 v47, v47, v114
	v_add_f32_e32 v76, v74, v116
	v_fmamk_f32 v74, v72, 0xbf5db3d7, v109
	v_fmac_f32_e32 v109, 0x3f5db3d7, v72
	v_mul_f32_e32 v80, 0xbf5db3d7, v1
	v_mul_f32_e32 v83, 0xbf5db3d7, v111
	v_mul_f32_e32 v85, 0.5, v1
	v_add_f32_e32 v84, v73, v118
	v_mul_f32_e32 v86, -0.5, v111
	v_fmac_f32_e32 v80, 0.5, v74
	v_fmac_f32_e32 v83, -0.5, v109
	v_add_f32_e32 v0, v47, v76
	v_fmac_f32_e32 v85, 0x3f5db3d7, v74
	v_sub_f32_e32 v76, v47, v76
	v_add_f32_e32 v47, v119, v129
	v_fmac_f32_e32 v86, 0x3f5db3d7, v109
	v_add_f32_e32 v72, v78, v80
	v_add_f32_e32 v74, v77, v83
	;; [unrolled: 1-line block ×4, first 2 shown]
	v_sub_f32_e32 v78, v78, v80
	v_sub_f32_e32 v80, v77, v83
	;; [unrolled: 1-line block ×4, first 2 shown]
	v_add_f32_e32 v82, v2, v119
	v_fma_f32 v2, -0.5, v47, v2
	v_sub_f32_e32 v47, v128, v121
	v_add_f32_e32 v75, v81, v86
	v_sub_f32_e32 v81, v81, v86
	v_add_f32_e32 v83, v128, v121
	v_add_f32_e32 v86, v82, v129
	;; [unrolled: 1-line block ×3, first 2 shown]
	v_fmamk_f32 v87, v47, 0xbf5db3d7, v2
	v_fmac_f32_e32 v2, 0x3f5db3d7, v47
	v_add_f32_e32 v47, v130, v120
	v_fmac_f32_e32 v3, -0.5, v83
	v_sub_f32_e32 v83, v119, v129
	v_add_f32_e32 v89, v82, v121
	v_add_f32_e32 v82, v127, v131
	;; [unrolled: 1-line block ×3, first 2 shown]
	v_fmac_f32_e32 v5, -0.5, v47
	v_sub_f32_e32 v47, v127, v131
	v_fmamk_f32 v90, v83, 0x3f5db3d7, v3
	v_add_f32_e32 v85, v4, v127
	v_fmac_f32_e32 v4, -0.5, v82
	v_sub_f32_e32 v82, v130, v120
	v_fmac_f32_e32 v3, 0xbf5db3d7, v83
	v_fmamk_f32 v83, v47, 0x3f5db3d7, v5
	v_fmac_f32_e32 v5, 0xbf5db3d7, v47
	v_add_f32_e32 v47, v85, v131
	v_fmamk_f32 v85, v82, 0xbf5db3d7, v4
	v_fmac_f32_e32 v4, 0x3f5db3d7, v82
	v_mul_f32_e32 v88, 0xbf5db3d7, v83
	v_mul_f32_e32 v91, 0xbf5db3d7, v5
	v_mul_f32_e32 v93, 0.5, v83
	v_mul_f32_e32 v94, -0.5, v5
	v_add_f32_e32 v92, v84, v120
	v_fmac_f32_e32 v88, 0.5, v85
	v_fmac_f32_e32 v91, -0.5, v4
	v_fmac_f32_e32 v93, 0x3f5db3d7, v85
	v_fmac_f32_e32 v94, 0x3f5db3d7, v4
	v_add_f32_e32 v82, v86, v47
	v_add_f32_e32 v4, v87, v88
	;; [unrolled: 1-line block ×6, first 2 shown]
	v_sub_f32_e32 v86, v86, v47
	v_sub_f32_e32 v88, v87, v88
	;; [unrolled: 1-line block ×6, first 2 shown]
	s_barrier
	buffer_gl0_inv
	ds_write2_b64 v56, v[6:7], v[21:22] offset1:60
	ds_write2_b64 v61, v[11:12], v[23:24] offset0:104 offset1:164
	ds_write2_b64 v9, v[13:14], v[25:26] offset0:80 offset1:140
	;; [unrolled: 1-line block ×17, first 2 shown]
	s_waitcnt lgkmcnt(0)
	s_barrier
	buffer_gl0_inv
	s_and_saveexec_b32 s0, vcc_lo
	s_cbranch_execz .LBB0_23
; %bb.22:
	v_mul_lo_u32 v0, s3, v52
	v_mul_lo_u32 v1, s2, v53
	v_mad_u64_u32 v[4:5], null, s2, v52, 0
	v_lshl_add_u32 v20, v48, 3, 0
	v_mov_b32_e32 v49, 0
	v_lshlrev_b64 v[8:9], 3, v[50:51]
	v_add_nc_u32_e32 v10, 60, v48
	v_add_nc_u32_e32 v12, 0x78, v48
	;; [unrolled: 1-line block ×3, first 2 shown]
	v_add3_u32 v5, v5, v1, v0
	ds_read2_b64 v[0:3], v20 offset1:60
	v_mov_b32_e32 v11, v49
	v_lshlrev_b64 v[16:17], 3, v[48:49]
	v_mov_b32_e32 v13, v49
	v_lshlrev_b64 v[14:15], 3, v[4:5]
	ds_read2_b64 v[4:7], v20 offset0:120 offset1:180
	v_lshlrev_b64 v[10:11], 3, v[10:11]
	v_mov_b32_e32 v19, v49
	v_add_nc_u32_e32 v23, 0x1800, v20
	v_add_nc_u32_e32 v24, 0x2000, v20
	v_add_co_u32 v14, vcc_lo, s10, v14
	v_add_co_ci_u32_e32 v15, vcc_lo, s11, v15, vcc_lo
	v_add_co_u32 v21, vcc_lo, v14, v8
	v_add_co_ci_u32_e32 v22, vcc_lo, v15, v9, vcc_lo
	v_lshlrev_b64 v[8:9], 3, v[12:13]
	v_add_co_u32 v12, vcc_lo, v21, v16
	v_add_co_ci_u32_e32 v13, vcc_lo, v22, v17, vcc_lo
	v_add_co_u32 v10, vcc_lo, v21, v10
	v_add_co_ci_u32_e32 v11, vcc_lo, v22, v11, vcc_lo
	v_add_co_u32 v8, vcc_lo, v21, v8
	v_add_nc_u32_e32 v14, 0xb4, v48
	v_mov_b32_e32 v15, v49
	v_add_co_ci_u32_e32 v9, vcc_lo, v22, v9, vcc_lo
	s_waitcnt lgkmcnt(1)
	global_store_dwordx2 v[12:13], v[0:1], off
	global_store_dwordx2 v[10:11], v[2:3], off
	s_waitcnt lgkmcnt(0)
	global_store_dwordx2 v[8:9], v[4:5], off
	v_lshlrev_b64 v[0:1], 3, v[14:15]
	v_add_nc_u32_e32 v2, 0x400, v20
	v_add_nc_u32_e32 v8, 0x12c, v48
	v_mov_b32_e32 v9, v49
	v_add_nc_u32_e32 v10, 0x800, v20
	v_add_nc_u32_e32 v4, 0xf0, v48
	v_mov_b32_e32 v5, v49
	v_add_co_u32 v12, vcc_lo, v21, v0
	v_add_co_ci_u32_e32 v13, vcc_lo, v22, v1, vcc_lo
	ds_read2_b64 v[0:3], v2 offset0:112 offset1:172
	v_lshlrev_b64 v[14:15], 3, v[8:9]
	ds_read2_b64 v[8:11], v10 offset0:104 offset1:164
	v_lshlrev_b64 v[4:5], 3, v[4:5]
	v_add_nc_u32_e32 v16, 0x168, v48
	v_mov_b32_e32 v17, v49
	v_add_co_u32 v4, vcc_lo, v21, v4
	v_lshlrev_b64 v[16:17], 3, v[16:17]
	v_add_co_ci_u32_e32 v5, vcc_lo, v22, v5, vcc_lo
	v_add_co_u32 v14, vcc_lo, v21, v14
	v_add_co_ci_u32_e32 v15, vcc_lo, v22, v15, vcc_lo
	v_add_co_u32 v16, vcc_lo, v21, v16
	v_add_co_ci_u32_e32 v17, vcc_lo, v22, v17, vcc_lo
	global_store_dwordx2 v[12:13], v[6:7], off
	s_waitcnt lgkmcnt(1)
	global_store_dwordx2 v[4:5], v[0:1], off
	global_store_dwordx2 v[14:15], v[2:3], off
	s_waitcnt lgkmcnt(0)
	global_store_dwordx2 v[16:17], v[8:9], off
	v_lshlrev_b64 v[0:1], 3, v[18:19]
	v_add_nc_u32_e32 v2, 0xc00, v20
	v_add_nc_u32_e32 v4, 0x1e0, v48
	v_mov_b32_e32 v5, v49
	v_add_nc_u32_e32 v6, 0x21c, v48
	v_mov_b32_e32 v7, v49
	v_add_nc_u32_e32 v17, 0x1000, v20
	v_add_co_u32 v8, vcc_lo, v21, v0
	v_add_co_ci_u32_e32 v9, vcc_lo, v22, v1, vcc_lo
	ds_read2_b64 v[0:3], v2 offset0:96 offset1:156
	v_lshlrev_b64 v[12:13], 3, v[4:5]
	v_lshlrev_b64 v[14:15], 3, v[6:7]
	ds_read2_b64 v[4:7], v17 offset0:88 offset1:148
	v_add_nc_u32_e32 v16, 0x258, v48
	v_mov_b32_e32 v17, v49
	v_add_nc_u32_e32 v18, 0x294, v48
	v_add_co_u32 v12, vcc_lo, v21, v12
	v_add_co_ci_u32_e32 v13, vcc_lo, v22, v13, vcc_lo
	v_lshlrev_b64 v[16:17], 3, v[16:17]
	v_add_co_u32 v14, vcc_lo, v21, v14
	v_add_co_ci_u32_e32 v15, vcc_lo, v22, v15, vcc_lo
	v_add_co_u32 v16, vcc_lo, v21, v16
	v_add_co_ci_u32_e32 v17, vcc_lo, v22, v17, vcc_lo
	global_store_dwordx2 v[8:9], v[10:11], off
	s_waitcnt lgkmcnt(1)
	global_store_dwordx2 v[12:13], v[0:1], off
	global_store_dwordx2 v[14:15], v[2:3], off
	s_waitcnt lgkmcnt(0)
	global_store_dwordx2 v[16:17], v[4:5], off
	v_lshlrev_b64 v[0:1], 3, v[18:19]
	v_add_nc_u32_e32 v2, 0x1400, v20
	v_add_nc_u32_e32 v8, 0x30c, v48
	v_mov_b32_e32 v9, v49
	v_add_nc_u32_e32 v4, 0x2d0, v48
	v_mov_b32_e32 v5, v49
	v_add_co_u32 v12, vcc_lo, v21, v0
	v_add_co_ci_u32_e32 v13, vcc_lo, v22, v1, vcc_lo
	ds_read2_b64 v[0:3], v2 offset0:80 offset1:140
	v_lshlrev_b64 v[14:15], 3, v[8:9]
	ds_read2_b64 v[8:11], v23 offset0:72 offset1:132
	v_lshlrev_b64 v[4:5], 3, v[4:5]
	v_add_nc_u32_e32 v16, 0x348, v48
	v_mov_b32_e32 v17, v49
	v_add_nc_u32_e32 v18, 0x384, v48
	v_add_co_u32 v4, vcc_lo, v21, v4
	v_lshlrev_b64 v[16:17], 3, v[16:17]
	v_add_co_ci_u32_e32 v5, vcc_lo, v22, v5, vcc_lo
	v_add_co_u32 v14, vcc_lo, v21, v14
	v_add_co_ci_u32_e32 v15, vcc_lo, v22, v15, vcc_lo
	v_add_co_u32 v16, vcc_lo, v21, v16
	v_add_co_ci_u32_e32 v17, vcc_lo, v22, v17, vcc_lo
	global_store_dwordx2 v[12:13], v[6:7], off
	s_waitcnt lgkmcnt(1)
	global_store_dwordx2 v[4:5], v[0:1], off
	global_store_dwordx2 v[14:15], v[2:3], off
	s_waitcnt lgkmcnt(0)
	global_store_dwordx2 v[16:17], v[8:9], off
	v_lshlrev_b64 v[0:1], 3, v[18:19]
	v_add_nc_u32_e32 v4, 0x3c0, v48
	v_mov_b32_e32 v5, v49
	v_add_nc_u32_e32 v6, 0x3fc, v48
	v_mov_b32_e32 v7, v49
	v_add_nc_u32_e32 v16, 0x438, v48
	v_add_co_u32 v8, vcc_lo, v21, v0
	v_add_co_ci_u32_e32 v9, vcc_lo, v22, v1, vcc_lo
	ds_read2_b64 v[0:3], v23 offset0:192 offset1:252
	v_lshlrev_b64 v[12:13], 3, v[4:5]
	v_lshlrev_b64 v[14:15], 3, v[6:7]
	ds_read2_b64 v[4:7], v24 offset0:56 offset1:116
	v_mov_b32_e32 v17, v49
	v_add_nc_u32_e32 v18, 0x474, v48
	v_add_nc_u32_e32 v23, 0x2800, v20
	v_add_co_u32 v12, vcc_lo, v21, v12
	v_lshlrev_b64 v[16:17], 3, v[16:17]
	v_add_co_ci_u32_e32 v13, vcc_lo, v22, v13, vcc_lo
	v_add_co_u32 v14, vcc_lo, v21, v14
	v_add_co_ci_u32_e32 v15, vcc_lo, v22, v15, vcc_lo
	v_add_co_u32 v16, vcc_lo, v21, v16
	v_add_co_ci_u32_e32 v17, vcc_lo, v22, v17, vcc_lo
	global_store_dwordx2 v[8:9], v[10:11], off
	s_waitcnt lgkmcnt(1)
	global_store_dwordx2 v[12:13], v[0:1], off
	global_store_dwordx2 v[14:15], v[2:3], off
	s_waitcnt lgkmcnt(0)
	global_store_dwordx2 v[16:17], v[4:5], off
	v_lshlrev_b64 v[0:1], 3, v[18:19]
	v_add_nc_u32_e32 v8, 0x4ec, v48
	v_mov_b32_e32 v9, v49
	v_add_nc_u32_e32 v4, 0x4b0, v48
	v_mov_b32_e32 v5, v49
	v_add_nc_u32_e32 v16, 0x528, v48
	v_add_co_u32 v12, vcc_lo, v21, v0
	v_add_co_ci_u32_e32 v13, vcc_lo, v22, v1, vcc_lo
	ds_read2_b64 v[0:3], v24 offset0:176 offset1:236
	v_lshlrev_b64 v[14:15], 3, v[8:9]
	ds_read2_b64 v[8:11], v23 offset0:40 offset1:100
	v_lshlrev_b64 v[4:5], 3, v[4:5]
	v_mov_b32_e32 v17, v49
	v_add_nc_u32_e32 v18, 0x564, v48
	v_add_nc_u32_e32 v24, 0x3000, v20
	v_add_co_u32 v4, vcc_lo, v21, v4
	v_lshlrev_b64 v[16:17], 3, v[16:17]
	v_add_co_ci_u32_e32 v5, vcc_lo, v22, v5, vcc_lo
	v_add_co_u32 v14, vcc_lo, v21, v14
	v_add_co_ci_u32_e32 v15, vcc_lo, v22, v15, vcc_lo
	v_add_co_u32 v16, vcc_lo, v21, v16
	v_add_co_ci_u32_e32 v17, vcc_lo, v22, v17, vcc_lo
	global_store_dwordx2 v[12:13], v[6:7], off
	s_waitcnt lgkmcnt(1)
	global_store_dwordx2 v[4:5], v[0:1], off
	global_store_dwordx2 v[14:15], v[2:3], off
	s_waitcnt lgkmcnt(0)
	global_store_dwordx2 v[16:17], v[8:9], off
	v_lshlrev_b64 v[0:1], 3, v[18:19]
	v_add_nc_u32_e32 v4, 0x5a0, v48
	v_mov_b32_e32 v5, v49
	v_add_nc_u32_e32 v6, 0x5dc, v48
	v_mov_b32_e32 v7, v49
	v_add_nc_u32_e32 v16, 0x618, v48
	v_add_co_u32 v8, vcc_lo, v21, v0
	v_add_co_ci_u32_e32 v9, vcc_lo, v22, v1, vcc_lo
	ds_read2_b64 v[0:3], v23 offset0:160 offset1:220
	v_lshlrev_b64 v[12:13], 3, v[4:5]
	v_lshlrev_b64 v[14:15], 3, v[6:7]
	ds_read2_b64 v[4:7], v24 offset0:24 offset1:84
	v_mov_b32_e32 v17, v49
	v_add_nc_u32_e32 v18, 0x654, v48
	v_add_nc_u32_e32 v23, 0x3800, v20
	v_add_co_u32 v12, vcc_lo, v21, v12
	v_lshlrev_b64 v[16:17], 3, v[16:17]
	v_add_co_ci_u32_e32 v13, vcc_lo, v22, v13, vcc_lo
	v_add_co_u32 v14, vcc_lo, v21, v14
	v_add_co_ci_u32_e32 v15, vcc_lo, v22, v15, vcc_lo
	v_add_co_u32 v16, vcc_lo, v21, v16
	v_add_co_ci_u32_e32 v17, vcc_lo, v22, v17, vcc_lo
	global_store_dwordx2 v[8:9], v[10:11], off
	s_waitcnt lgkmcnt(1)
	global_store_dwordx2 v[12:13], v[0:1], off
	global_store_dwordx2 v[14:15], v[2:3], off
	s_waitcnt lgkmcnt(0)
	global_store_dwordx2 v[16:17], v[4:5], off
	v_lshlrev_b64 v[0:1], 3, v[18:19]
	v_add_nc_u32_e32 v8, 0x6cc, v48
	v_mov_b32_e32 v9, v49
	v_add_nc_u32_e32 v4, 0x690, v48
	v_mov_b32_e32 v5, v49
	v_add_nc_u32_e32 v16, 0x708, v48
	v_add_co_u32 v12, vcc_lo, v21, v0
	v_add_co_ci_u32_e32 v13, vcc_lo, v22, v1, vcc_lo
	ds_read2_b64 v[0:3], v24 offset0:144 offset1:204
	v_lshlrev_b64 v[14:15], 3, v[8:9]
	ds_read2_b64 v[8:11], v23 offset0:8 offset1:68
	v_lshlrev_b64 v[4:5], 3, v[4:5]
	v_mov_b32_e32 v17, v49
	v_add_nc_u32_e32 v18, 0x744, v48
	v_add_co_u32 v4, vcc_lo, v21, v4
	v_lshlrev_b64 v[16:17], 3, v[16:17]
	v_add_co_ci_u32_e32 v5, vcc_lo, v22, v5, vcc_lo
	v_add_co_u32 v14, vcc_lo, v21, v14
	v_add_co_ci_u32_e32 v15, vcc_lo, v22, v15, vcc_lo
	v_add_co_u32 v16, vcc_lo, v21, v16
	v_add_co_ci_u32_e32 v17, vcc_lo, v22, v17, vcc_lo
	global_store_dwordx2 v[12:13], v[6:7], off
	s_waitcnt lgkmcnt(1)
	global_store_dwordx2 v[4:5], v[0:1], off
	global_store_dwordx2 v[14:15], v[2:3], off
	s_waitcnt lgkmcnt(0)
	global_store_dwordx2 v[16:17], v[8:9], off
	v_lshlrev_b64 v[0:1], 3, v[18:19]
	v_add_nc_u32_e32 v4, 0x780, v48
	v_mov_b32_e32 v5, v49
	v_add_nc_u32_e32 v6, 0x7bc, v48
	v_mov_b32_e32 v7, v49
	v_add_nc_u32_e32 v18, 0x3c00, v20
	v_add_co_u32 v8, vcc_lo, v21, v0
	v_add_co_ci_u32_e32 v9, vcc_lo, v22, v1, vcc_lo
	ds_read2_b64 v[0:3], v23 offset0:128 offset1:188
	v_lshlrev_b64 v[12:13], 3, v[4:5]
	v_lshlrev_b64 v[14:15], 3, v[6:7]
	v_add_nc_u32_e32 v16, 0x7f8, v48
	v_mov_b32_e32 v17, v49
	ds_read2_b64 v[4:7], v18 offset0:120 offset1:180
	v_add_nc_u32_e32 v48, 0x834, v48
	v_add_co_u32 v12, vcc_lo, v21, v12
	v_lshlrev_b64 v[16:17], 3, v[16:17]
	v_add_co_ci_u32_e32 v13, vcc_lo, v22, v13, vcc_lo
	v_add_co_u32 v14, vcc_lo, v21, v14
	v_lshlrev_b64 v[18:19], 3, v[48:49]
	v_add_co_ci_u32_e32 v15, vcc_lo, v22, v15, vcc_lo
	v_add_co_u32 v16, vcc_lo, v21, v16
	v_add_co_ci_u32_e32 v17, vcc_lo, v22, v17, vcc_lo
	v_add_co_u32 v18, vcc_lo, v21, v18
	v_add_co_ci_u32_e32 v19, vcc_lo, v22, v19, vcc_lo
	global_store_dwordx2 v[8:9], v[10:11], off
	s_waitcnt lgkmcnt(1)
	global_store_dwordx2 v[12:13], v[0:1], off
	global_store_dwordx2 v[14:15], v[2:3], off
	s_waitcnt lgkmcnt(0)
	global_store_dwordx2 v[16:17], v[4:5], off
	global_store_dwordx2 v[18:19], v[6:7], off
.LBB0_23:
	s_endpgm
	.section	.rodata,"a",@progbits
	.p2align	6, 0x0
	.amdhsa_kernel fft_rtc_back_len2160_factors_10_6_6_6_wgs_60_tpt_60_halfLds_sp_op_CI_CI_unitstride_sbrr_C2R_dirReg
		.amdhsa_group_segment_fixed_size 0
		.amdhsa_private_segment_fixed_size 0
		.amdhsa_kernarg_size 104
		.amdhsa_user_sgpr_count 6
		.amdhsa_user_sgpr_private_segment_buffer 1
		.amdhsa_user_sgpr_dispatch_ptr 0
		.amdhsa_user_sgpr_queue_ptr 0
		.amdhsa_user_sgpr_kernarg_segment_ptr 1
		.amdhsa_user_sgpr_dispatch_id 0
		.amdhsa_user_sgpr_flat_scratch_init 0
		.amdhsa_user_sgpr_private_segment_size 0
		.amdhsa_wavefront_size32 1
		.amdhsa_uses_dynamic_stack 0
		.amdhsa_system_sgpr_private_segment_wavefront_offset 0
		.amdhsa_system_sgpr_workgroup_id_x 1
		.amdhsa_system_sgpr_workgroup_id_y 0
		.amdhsa_system_sgpr_workgroup_id_z 0
		.amdhsa_system_sgpr_workgroup_info 0
		.amdhsa_system_vgpr_workitem_id 0
		.amdhsa_next_free_vgpr 150
		.amdhsa_next_free_sgpr 27
		.amdhsa_reserve_vcc 1
		.amdhsa_reserve_flat_scratch 0
		.amdhsa_float_round_mode_32 0
		.amdhsa_float_round_mode_16_64 0
		.amdhsa_float_denorm_mode_32 3
		.amdhsa_float_denorm_mode_16_64 3
		.amdhsa_dx10_clamp 1
		.amdhsa_ieee_mode 1
		.amdhsa_fp16_overflow 0
		.amdhsa_workgroup_processor_mode 1
		.amdhsa_memory_ordered 1
		.amdhsa_forward_progress 0
		.amdhsa_shared_vgpr_count 0
		.amdhsa_exception_fp_ieee_invalid_op 0
		.amdhsa_exception_fp_denorm_src 0
		.amdhsa_exception_fp_ieee_div_zero 0
		.amdhsa_exception_fp_ieee_overflow 0
		.amdhsa_exception_fp_ieee_underflow 0
		.amdhsa_exception_fp_ieee_inexact 0
		.amdhsa_exception_int_div_zero 0
	.end_amdhsa_kernel
	.text
.Lfunc_end0:
	.size	fft_rtc_back_len2160_factors_10_6_6_6_wgs_60_tpt_60_halfLds_sp_op_CI_CI_unitstride_sbrr_C2R_dirReg, .Lfunc_end0-fft_rtc_back_len2160_factors_10_6_6_6_wgs_60_tpt_60_halfLds_sp_op_CI_CI_unitstride_sbrr_C2R_dirReg
                                        ; -- End function
	.section	.AMDGPU.csdata,"",@progbits
; Kernel info:
; codeLenInByte = 19600
; NumSgprs: 29
; NumVgprs: 150
; ScratchSize: 0
; MemoryBound: 0
; FloatMode: 240
; IeeeMode: 1
; LDSByteSize: 0 bytes/workgroup (compile time only)
; SGPRBlocks: 3
; VGPRBlocks: 18
; NumSGPRsForWavesPerEU: 29
; NumVGPRsForWavesPerEU: 150
; Occupancy: 6
; WaveLimiterHint : 1
; COMPUTE_PGM_RSRC2:SCRATCH_EN: 0
; COMPUTE_PGM_RSRC2:USER_SGPR: 6
; COMPUTE_PGM_RSRC2:TRAP_HANDLER: 0
; COMPUTE_PGM_RSRC2:TGID_X_EN: 1
; COMPUTE_PGM_RSRC2:TGID_Y_EN: 0
; COMPUTE_PGM_RSRC2:TGID_Z_EN: 0
; COMPUTE_PGM_RSRC2:TIDIG_COMP_CNT: 0
	.text
	.p2alignl 6, 3214868480
	.fill 48, 4, 3214868480
	.type	__hip_cuid_d98191fd117eeaeb,@object ; @__hip_cuid_d98191fd117eeaeb
	.section	.bss,"aw",@nobits
	.globl	__hip_cuid_d98191fd117eeaeb
__hip_cuid_d98191fd117eeaeb:
	.byte	0                               ; 0x0
	.size	__hip_cuid_d98191fd117eeaeb, 1

	.ident	"AMD clang version 19.0.0git (https://github.com/RadeonOpenCompute/llvm-project roc-6.4.0 25133 c7fe45cf4b819c5991fe208aaa96edf142730f1d)"
	.section	".note.GNU-stack","",@progbits
	.addrsig
	.addrsig_sym __hip_cuid_d98191fd117eeaeb
	.amdgpu_metadata
---
amdhsa.kernels:
  - .args:
      - .actual_access:  read_only
        .address_space:  global
        .offset:         0
        .size:           8
        .value_kind:     global_buffer
      - .offset:         8
        .size:           8
        .value_kind:     by_value
      - .actual_access:  read_only
        .address_space:  global
        .offset:         16
        .size:           8
        .value_kind:     global_buffer
      - .actual_access:  read_only
        .address_space:  global
        .offset:         24
        .size:           8
        .value_kind:     global_buffer
      - .actual_access:  read_only
        .address_space:  global
        .offset:         32
        .size:           8
        .value_kind:     global_buffer
      - .offset:         40
        .size:           8
        .value_kind:     by_value
      - .actual_access:  read_only
        .address_space:  global
        .offset:         48
        .size:           8
        .value_kind:     global_buffer
      - .actual_access:  read_only
        .address_space:  global
        .offset:         56
        .size:           8
        .value_kind:     global_buffer
      - .offset:         64
        .size:           4
        .value_kind:     by_value
      - .actual_access:  read_only
        .address_space:  global
        .offset:         72
        .size:           8
        .value_kind:     global_buffer
      - .actual_access:  read_only
        .address_space:  global
        .offset:         80
        .size:           8
        .value_kind:     global_buffer
      - .actual_access:  read_only
        .address_space:  global
        .offset:         88
        .size:           8
        .value_kind:     global_buffer
      - .actual_access:  write_only
        .address_space:  global
        .offset:         96
        .size:           8
        .value_kind:     global_buffer
    .group_segment_fixed_size: 0
    .kernarg_segment_align: 8
    .kernarg_segment_size: 104
    .language:       OpenCL C
    .language_version:
      - 2
      - 0
    .max_flat_workgroup_size: 60
    .name:           fft_rtc_back_len2160_factors_10_6_6_6_wgs_60_tpt_60_halfLds_sp_op_CI_CI_unitstride_sbrr_C2R_dirReg
    .private_segment_fixed_size: 0
    .sgpr_count:     29
    .sgpr_spill_count: 0
    .symbol:         fft_rtc_back_len2160_factors_10_6_6_6_wgs_60_tpt_60_halfLds_sp_op_CI_CI_unitstride_sbrr_C2R_dirReg.kd
    .uniform_work_group_size: 1
    .uses_dynamic_stack: false
    .vgpr_count:     150
    .vgpr_spill_count: 0
    .wavefront_size: 32
    .workgroup_processor_mode: 1
amdhsa.target:   amdgcn-amd-amdhsa--gfx1030
amdhsa.version:
  - 1
  - 2
...

	.end_amdgpu_metadata
